;; amdgpu-corpus repo=ROCm/hipCUB kind=compiled arch=gfx1100 opt=O3
	.text
	.amdgcn_target "amdgcn-amd-amdhsa--gfx1100"
	.amdhsa_code_object_version 6
	.section	.text._Z6kernelI18blocked_to_stripediLj256ELj1ELj100EEvPKT0_PKjPS1_,"axG",@progbits,_Z6kernelI18blocked_to_stripediLj256ELj1ELj100EEvPKT0_PKjPS1_,comdat
	.protected	_Z6kernelI18blocked_to_stripediLj256ELj1ELj100EEvPKT0_PKjPS1_ ; -- Begin function _Z6kernelI18blocked_to_stripediLj256ELj1ELj100EEvPKT0_PKjPS1_
	.globl	_Z6kernelI18blocked_to_stripediLj256ELj1ELj100EEvPKT0_PKjPS1_
	.p2align	8
	.type	_Z6kernelI18blocked_to_stripediLj256ELj1ELj100EEvPKT0_PKjPS1_,@function
_Z6kernelI18blocked_to_stripediLj256ELj1ELj100EEvPKT0_PKjPS1_: ; @_Z6kernelI18blocked_to_stripediLj256ELj1ELj100EEvPKT0_PKjPS1_
; %bb.0:
	s_load_b64 s[4:5], s[0:1], 0x0
	s_lshl_b32 s2, s15, 8
	s_mov_b32 s3, 0
	v_lshlrev_b32_e32 v2, 2, v0
	s_lshl_b64 s[2:3], s[2:3], 2
	s_waitcnt lgkmcnt(0)
	s_add_u32 s4, s4, s2
	s_addc_u32 s5, s5, s3
	global_load_b32 v1, v2, s[4:5]
	s_movk_i32 s4, 0x64
.LBB0_1:                                ; =>This Inner Loop Header: Depth=1
	s_waitcnt vmcnt(0)
	ds_store_b32 v2, v1
	s_waitcnt lgkmcnt(0)
	s_barrier
	buffer_gl0_inv
	ds_load_b32 v1, v2
	s_add_i32 s4, s4, -1
	s_waitcnt lgkmcnt(0)
	s_cmp_lg_u32 s4, 0
	s_barrier
	buffer_gl0_inv
	s_cbranch_scc1 .LBB0_1
; %bb.2:
	s_load_b64 s[0:1], s[0:1], 0x10
	v_lshlrev_b32_e32 v0, 2, v0
	s_waitcnt lgkmcnt(0)
	s_add_u32 s0, s0, s2
	s_addc_u32 s1, s1, s3
	global_store_b32 v0, v1, s[0:1]
	s_nop 0
	s_sendmsg sendmsg(MSG_DEALLOC_VGPRS)
	s_endpgm
	.section	.rodata,"a",@progbits
	.p2align	6, 0x0
	.amdhsa_kernel _Z6kernelI18blocked_to_stripediLj256ELj1ELj100EEvPKT0_PKjPS1_
		.amdhsa_group_segment_fixed_size 1024
		.amdhsa_private_segment_fixed_size 0
		.amdhsa_kernarg_size 24
		.amdhsa_user_sgpr_count 15
		.amdhsa_user_sgpr_dispatch_ptr 0
		.amdhsa_user_sgpr_queue_ptr 0
		.amdhsa_user_sgpr_kernarg_segment_ptr 1
		.amdhsa_user_sgpr_dispatch_id 0
		.amdhsa_user_sgpr_private_segment_size 0
		.amdhsa_wavefront_size32 1
		.amdhsa_uses_dynamic_stack 0
		.amdhsa_enable_private_segment 0
		.amdhsa_system_sgpr_workgroup_id_x 1
		.amdhsa_system_sgpr_workgroup_id_y 0
		.amdhsa_system_sgpr_workgroup_id_z 0
		.amdhsa_system_sgpr_workgroup_info 0
		.amdhsa_system_vgpr_workitem_id 0
		.amdhsa_next_free_vgpr 3
		.amdhsa_next_free_sgpr 16
		.amdhsa_reserve_vcc 0
		.amdhsa_float_round_mode_32 0
		.amdhsa_float_round_mode_16_64 0
		.amdhsa_float_denorm_mode_32 3
		.amdhsa_float_denorm_mode_16_64 3
		.amdhsa_dx10_clamp 1
		.amdhsa_ieee_mode 1
		.amdhsa_fp16_overflow 0
		.amdhsa_workgroup_processor_mode 1
		.amdhsa_memory_ordered 1
		.amdhsa_forward_progress 0
		.amdhsa_shared_vgpr_count 0
		.amdhsa_exception_fp_ieee_invalid_op 0
		.amdhsa_exception_fp_denorm_src 0
		.amdhsa_exception_fp_ieee_div_zero 0
		.amdhsa_exception_fp_ieee_overflow 0
		.amdhsa_exception_fp_ieee_underflow 0
		.amdhsa_exception_fp_ieee_inexact 0
		.amdhsa_exception_int_div_zero 0
	.end_amdhsa_kernel
	.section	.text._Z6kernelI18blocked_to_stripediLj256ELj1ELj100EEvPKT0_PKjPS1_,"axG",@progbits,_Z6kernelI18blocked_to_stripediLj256ELj1ELj100EEvPKT0_PKjPS1_,comdat
.Lfunc_end0:
	.size	_Z6kernelI18blocked_to_stripediLj256ELj1ELj100EEvPKT0_PKjPS1_, .Lfunc_end0-_Z6kernelI18blocked_to_stripediLj256ELj1ELj100EEvPKT0_PKjPS1_
                                        ; -- End function
	.section	.AMDGPU.csdata,"",@progbits
; Kernel info:
; codeLenInByte = 156
; NumSgprs: 16
; NumVgprs: 3
; ScratchSize: 0
; MemoryBound: 0
; FloatMode: 240
; IeeeMode: 1
; LDSByteSize: 1024 bytes/workgroup (compile time only)
; SGPRBlocks: 1
; VGPRBlocks: 0
; NumSGPRsForWavesPerEU: 16
; NumVGPRsForWavesPerEU: 3
; Occupancy: 16
; WaveLimiterHint : 0
; COMPUTE_PGM_RSRC2:SCRATCH_EN: 0
; COMPUTE_PGM_RSRC2:USER_SGPR: 15
; COMPUTE_PGM_RSRC2:TRAP_HANDLER: 0
; COMPUTE_PGM_RSRC2:TGID_X_EN: 1
; COMPUTE_PGM_RSRC2:TGID_Y_EN: 0
; COMPUTE_PGM_RSRC2:TGID_Z_EN: 0
; COMPUTE_PGM_RSRC2:TIDIG_COMP_CNT: 0
	.section	.text._Z6kernelI18blocked_to_stripediLj256ELj2ELj100EEvPKT0_PKjPS1_,"axG",@progbits,_Z6kernelI18blocked_to_stripediLj256ELj2ELj100EEvPKT0_PKjPS1_,comdat
	.protected	_Z6kernelI18blocked_to_stripediLj256ELj2ELj100EEvPKT0_PKjPS1_ ; -- Begin function _Z6kernelI18blocked_to_stripediLj256ELj2ELj100EEvPKT0_PKjPS1_
	.globl	_Z6kernelI18blocked_to_stripediLj256ELj2ELj100EEvPKT0_PKjPS1_
	.p2align	8
	.type	_Z6kernelI18blocked_to_stripediLj256ELj2ELj100EEvPKT0_PKjPS1_,@function
_Z6kernelI18blocked_to_stripediLj256ELj2ELj100EEvPKT0_PKjPS1_: ; @_Z6kernelI18blocked_to_stripediLj256ELj2ELj100EEvPKT0_PKjPS1_
; %bb.0:
	s_load_b64 s[4:5], s[0:1], 0x0
	s_lshl_b32 s2, s15, 9
	s_mov_b32 s3, 0
	v_lshlrev_b32_e32 v3, 3, v0
	s_lshl_b64 s[2:3], s[2:3], 2
	v_lshrrev_b32_e32 v4, 2, v0
	v_or_b32_e32 v5, 0x100, v0
	v_lshrrev_b32_e32 v6, 5, v0
	s_delay_alu instid0(VALU_DEP_3) | instskip(NEXT) | instid1(VALU_DEP_3)
	v_and_b32_e32 v4, 60, v4
	v_lshrrev_b32_e32 v5, 5, v5
	s_delay_alu instid0(VALU_DEP_1)
	v_add_lshl_u32 v5, v5, v0, 2
	s_waitcnt lgkmcnt(0)
	s_add_u32 s4, s4, s2
	s_addc_u32 s5, s5, s3
	global_load_b64 v[1:2], v3, s[4:5]
	v_add_nc_u32_e32 v3, v4, v3
	v_add_lshl_u32 v4, v6, v0, 2
	s_movk_i32 s4, 0x64
.LBB1_1:                                ; =>This Inner Loop Header: Depth=1
	s_waitcnt vmcnt(0)
	ds_store_2addr_b32 v3, v1, v2 offset1:1
	s_waitcnt lgkmcnt(0)
	s_barrier
	buffer_gl0_inv
	ds_load_b32 v1, v4
	ds_load_b32 v2, v5 offset:1024
	s_add_i32 s4, s4, -1
	s_waitcnt lgkmcnt(0)
	s_cmp_lg_u32 s4, 0
	s_barrier
	buffer_gl0_inv
	s_cbranch_scc1 .LBB1_1
; %bb.2:
	s_load_b64 s[0:1], s[0:1], 0x10
	v_lshlrev_b32_e32 v0, 2, v0
	s_waitcnt lgkmcnt(0)
	s_add_u32 s0, s0, s2
	s_addc_u32 s1, s1, s3
	s_clause 0x1
	global_store_b32 v0, v1, s[0:1]
	global_store_b32 v0, v2, s[0:1] offset:1024
	s_nop 0
	s_sendmsg sendmsg(MSG_DEALLOC_VGPRS)
	s_endpgm
	.section	.rodata,"a",@progbits
	.p2align	6, 0x0
	.amdhsa_kernel _Z6kernelI18blocked_to_stripediLj256ELj2ELj100EEvPKT0_PKjPS1_
		.amdhsa_group_segment_fixed_size 2112
		.amdhsa_private_segment_fixed_size 0
		.amdhsa_kernarg_size 24
		.amdhsa_user_sgpr_count 15
		.amdhsa_user_sgpr_dispatch_ptr 0
		.amdhsa_user_sgpr_queue_ptr 0
		.amdhsa_user_sgpr_kernarg_segment_ptr 1
		.amdhsa_user_sgpr_dispatch_id 0
		.amdhsa_user_sgpr_private_segment_size 0
		.amdhsa_wavefront_size32 1
		.amdhsa_uses_dynamic_stack 0
		.amdhsa_enable_private_segment 0
		.amdhsa_system_sgpr_workgroup_id_x 1
		.amdhsa_system_sgpr_workgroup_id_y 0
		.amdhsa_system_sgpr_workgroup_id_z 0
		.amdhsa_system_sgpr_workgroup_info 0
		.amdhsa_system_vgpr_workitem_id 0
		.amdhsa_next_free_vgpr 7
		.amdhsa_next_free_sgpr 16
		.amdhsa_reserve_vcc 0
		.amdhsa_float_round_mode_32 0
		.amdhsa_float_round_mode_16_64 0
		.amdhsa_float_denorm_mode_32 3
		.amdhsa_float_denorm_mode_16_64 3
		.amdhsa_dx10_clamp 1
		.amdhsa_ieee_mode 1
		.amdhsa_fp16_overflow 0
		.amdhsa_workgroup_processor_mode 1
		.amdhsa_memory_ordered 1
		.amdhsa_forward_progress 0
		.amdhsa_shared_vgpr_count 0
		.amdhsa_exception_fp_ieee_invalid_op 0
		.amdhsa_exception_fp_denorm_src 0
		.amdhsa_exception_fp_ieee_div_zero 0
		.amdhsa_exception_fp_ieee_overflow 0
		.amdhsa_exception_fp_ieee_underflow 0
		.amdhsa_exception_fp_ieee_inexact 0
		.amdhsa_exception_int_div_zero 0
	.end_amdhsa_kernel
	.section	.text._Z6kernelI18blocked_to_stripediLj256ELj2ELj100EEvPKT0_PKjPS1_,"axG",@progbits,_Z6kernelI18blocked_to_stripediLj256ELj2ELj100EEvPKT0_PKjPS1_,comdat
.Lfunc_end1:
	.size	_Z6kernelI18blocked_to_stripediLj256ELj2ELj100EEvPKT0_PKjPS1_, .Lfunc_end1-_Z6kernelI18blocked_to_stripediLj256ELj2ELj100EEvPKT0_PKjPS1_
                                        ; -- End function
	.section	.AMDGPU.csdata,"",@progbits
; Kernel info:
; codeLenInByte = 228
; NumSgprs: 16
; NumVgprs: 7
; ScratchSize: 0
; MemoryBound: 0
; FloatMode: 240
; IeeeMode: 1
; LDSByteSize: 2112 bytes/workgroup (compile time only)
; SGPRBlocks: 1
; VGPRBlocks: 0
; NumSGPRsForWavesPerEU: 16
; NumVGPRsForWavesPerEU: 7
; Occupancy: 16
; WaveLimiterHint : 1
; COMPUTE_PGM_RSRC2:SCRATCH_EN: 0
; COMPUTE_PGM_RSRC2:USER_SGPR: 15
; COMPUTE_PGM_RSRC2:TRAP_HANDLER: 0
; COMPUTE_PGM_RSRC2:TGID_X_EN: 1
; COMPUTE_PGM_RSRC2:TGID_Y_EN: 0
; COMPUTE_PGM_RSRC2:TGID_Z_EN: 0
; COMPUTE_PGM_RSRC2:TIDIG_COMP_CNT: 0
	.section	.text._Z6kernelI18blocked_to_stripediLj256ELj3ELj100EEvPKT0_PKjPS1_,"axG",@progbits,_Z6kernelI18blocked_to_stripediLj256ELj3ELj100EEvPKT0_PKjPS1_,comdat
	.protected	_Z6kernelI18blocked_to_stripediLj256ELj3ELj100EEvPKT0_PKjPS1_ ; -- Begin function _Z6kernelI18blocked_to_stripediLj256ELj3ELj100EEvPKT0_PKjPS1_
	.globl	_Z6kernelI18blocked_to_stripediLj256ELj3ELj100EEvPKT0_PKjPS1_
	.p2align	8
	.type	_Z6kernelI18blocked_to_stripediLj256ELj3ELj100EEvPKT0_PKjPS1_,@function
_Z6kernelI18blocked_to_stripediLj256ELj3ELj100EEvPKT0_PKjPS1_: ; @_Z6kernelI18blocked_to_stripediLj256ELj3ELj100EEvPKT0_PKjPS1_
; %bb.0:
	s_load_b64 s[4:5], s[0:1], 0x0
	v_mul_u32_u24_e32 v1, 3, v0
	s_mul_i32 s2, s15, 0x300
	s_mov_b32 s3, 0
	v_lshlrev_b32_e32 v5, 3, v0
	s_lshl_b64 s[2:3], s[2:3], 2
	v_lshlrev_b32_e32 v4, 2, v1
	s_delay_alu instid0(VALU_DEP_2) | instskip(NEXT) | instid1(VALU_DEP_1)
	v_sub_nc_u32_e32 v5, 0, v5
	v_add_nc_u32_e32 v5, v4, v5
	s_waitcnt lgkmcnt(0)
	s_add_u32 s4, s4, s2
	s_addc_u32 s5, s5, s3
	global_load_b96 v[1:3], v4, s[4:5]
	s_movk_i32 s4, 0x64
.LBB2_1:                                ; =>This Inner Loop Header: Depth=1
	s_waitcnt vmcnt(0)
	ds_store_2addr_b32 v4, v1, v2 offset1:1
	ds_store_b32 v4, v3 offset:8
	s_waitcnt lgkmcnt(0)
	s_barrier
	buffer_gl0_inv
	ds_load_2addr_stride64_b32 v[1:2], v5 offset1:4
	ds_load_b32 v3, v5 offset:2048
	s_add_i32 s4, s4, -1
	s_waitcnt lgkmcnt(0)
	s_cmp_lg_u32 s4, 0
	s_barrier
	buffer_gl0_inv
	s_cbranch_scc1 .LBB2_1
; %bb.2:
	s_load_b64 s[0:1], s[0:1], 0x10
	v_lshlrev_b32_e32 v0, 2, v0
	s_waitcnt lgkmcnt(0)
	s_add_u32 s0, s0, s2
	s_addc_u32 s1, s1, s3
	s_clause 0x2
	global_store_b32 v0, v1, s[0:1]
	global_store_b32 v0, v2, s[0:1] offset:1024
	global_store_b32 v0, v3, s[0:1] offset:2048
	s_nop 0
	s_sendmsg sendmsg(MSG_DEALLOC_VGPRS)
	s_endpgm
	.section	.rodata,"a",@progbits
	.p2align	6, 0x0
	.amdhsa_kernel _Z6kernelI18blocked_to_stripediLj256ELj3ELj100EEvPKT0_PKjPS1_
		.amdhsa_group_segment_fixed_size 3072
		.amdhsa_private_segment_fixed_size 0
		.amdhsa_kernarg_size 24
		.amdhsa_user_sgpr_count 15
		.amdhsa_user_sgpr_dispatch_ptr 0
		.amdhsa_user_sgpr_queue_ptr 0
		.amdhsa_user_sgpr_kernarg_segment_ptr 1
		.amdhsa_user_sgpr_dispatch_id 0
		.amdhsa_user_sgpr_private_segment_size 0
		.amdhsa_wavefront_size32 1
		.amdhsa_uses_dynamic_stack 0
		.amdhsa_enable_private_segment 0
		.amdhsa_system_sgpr_workgroup_id_x 1
		.amdhsa_system_sgpr_workgroup_id_y 0
		.amdhsa_system_sgpr_workgroup_id_z 0
		.amdhsa_system_sgpr_workgroup_info 0
		.amdhsa_system_vgpr_workitem_id 0
		.amdhsa_next_free_vgpr 6
		.amdhsa_next_free_sgpr 16
		.amdhsa_reserve_vcc 0
		.amdhsa_float_round_mode_32 0
		.amdhsa_float_round_mode_16_64 0
		.amdhsa_float_denorm_mode_32 3
		.amdhsa_float_denorm_mode_16_64 3
		.amdhsa_dx10_clamp 1
		.amdhsa_ieee_mode 1
		.amdhsa_fp16_overflow 0
		.amdhsa_workgroup_processor_mode 1
		.amdhsa_memory_ordered 1
		.amdhsa_forward_progress 0
		.amdhsa_shared_vgpr_count 0
		.amdhsa_exception_fp_ieee_invalid_op 0
		.amdhsa_exception_fp_denorm_src 0
		.amdhsa_exception_fp_ieee_div_zero 0
		.amdhsa_exception_fp_ieee_overflow 0
		.amdhsa_exception_fp_ieee_underflow 0
		.amdhsa_exception_fp_ieee_inexact 0
		.amdhsa_exception_int_div_zero 0
	.end_amdhsa_kernel
	.section	.text._Z6kernelI18blocked_to_stripediLj256ELj3ELj100EEvPKT0_PKjPS1_,"axG",@progbits,_Z6kernelI18blocked_to_stripediLj256ELj3ELj100EEvPKT0_PKjPS1_,comdat
.Lfunc_end2:
	.size	_Z6kernelI18blocked_to_stripediLj256ELj3ELj100EEvPKT0_PKjPS1_, .Lfunc_end2-_Z6kernelI18blocked_to_stripediLj256ELj3ELj100EEvPKT0_PKjPS1_
                                        ; -- End function
	.section	.AMDGPU.csdata,"",@progbits
; Kernel info:
; codeLenInByte = 216
; NumSgprs: 16
; NumVgprs: 6
; ScratchSize: 0
; MemoryBound: 0
; FloatMode: 240
; IeeeMode: 1
; LDSByteSize: 3072 bytes/workgroup (compile time only)
; SGPRBlocks: 1
; VGPRBlocks: 0
; NumSGPRsForWavesPerEU: 16
; NumVGPRsForWavesPerEU: 6
; Occupancy: 16
; WaveLimiterHint : 1
; COMPUTE_PGM_RSRC2:SCRATCH_EN: 0
; COMPUTE_PGM_RSRC2:USER_SGPR: 15
; COMPUTE_PGM_RSRC2:TRAP_HANDLER: 0
; COMPUTE_PGM_RSRC2:TGID_X_EN: 1
; COMPUTE_PGM_RSRC2:TGID_Y_EN: 0
; COMPUTE_PGM_RSRC2:TGID_Z_EN: 0
; COMPUTE_PGM_RSRC2:TIDIG_COMP_CNT: 0
	.section	.text._Z6kernelI18blocked_to_stripediLj256ELj4ELj100EEvPKT0_PKjPS1_,"axG",@progbits,_Z6kernelI18blocked_to_stripediLj256ELj4ELj100EEvPKT0_PKjPS1_,comdat
	.protected	_Z6kernelI18blocked_to_stripediLj256ELj4ELj100EEvPKT0_PKjPS1_ ; -- Begin function _Z6kernelI18blocked_to_stripediLj256ELj4ELj100EEvPKT0_PKjPS1_
	.globl	_Z6kernelI18blocked_to_stripediLj256ELj4ELj100EEvPKT0_PKjPS1_
	.p2align	8
	.type	_Z6kernelI18blocked_to_stripediLj256ELj4ELj100EEvPKT0_PKjPS1_,@function
_Z6kernelI18blocked_to_stripediLj256ELj4ELj100EEvPKT0_PKjPS1_: ; @_Z6kernelI18blocked_to_stripediLj256ELj4ELj100EEvPKT0_PKjPS1_
; %bb.0:
	s_load_b64 s[4:5], s[0:1], 0x0
	s_lshl_b32 s2, s15, 10
	s_mov_b32 s3, 0
	v_lshlrev_b32_e32 v5, 4, v0
	s_lshl_b64 s[2:3], s[2:3], 2
	v_lshrrev_b32_e32 v6, 1, v0
	v_or_b32_e32 v7, 0x100, v0
	v_or_b32_e32 v8, 0x200, v0
	;; [unrolled: 1-line block ×3, first 2 shown]
	v_lshrrev_b32_e32 v10, 5, v0
	v_and_b32_e32 v6, 0x7c, v6
	v_lshrrev_b32_e32 v7, 5, v7
	v_lshrrev_b32_e32 v8, 5, v8
	;; [unrolled: 1-line block ×3, first 2 shown]
	s_delay_alu instid0(VALU_DEP_3) | instskip(NEXT) | instid1(VALU_DEP_3)
	v_add_lshl_u32 v7, v7, v0, 2
	v_add_lshl_u32 v8, v8, v0, 2
	s_delay_alu instid0(VALU_DEP_3)
	v_add_lshl_u32 v9, v9, v0, 2
	s_waitcnt lgkmcnt(0)
	s_add_u32 s4, s4, s2
	s_addc_u32 s5, s5, s3
	global_load_b128 v[1:4], v5, s[4:5]
	v_add_nc_u32_e32 v5, v6, v5
	v_add_lshl_u32 v6, v10, v0, 2
	s_movk_i32 s4, 0x64
	.p2align	6
.LBB3_1:                                ; =>This Inner Loop Header: Depth=1
	s_waitcnt vmcnt(0)
	ds_store_2addr_b32 v5, v1, v2 offset1:1
	ds_store_2addr_b32 v5, v3, v4 offset0:2 offset1:3
	s_waitcnt lgkmcnt(0)
	s_barrier
	buffer_gl0_inv
	ds_load_b32 v1, v6
	ds_load_b32 v2, v7 offset:1024
	ds_load_b32 v3, v8 offset:2048
	;; [unrolled: 1-line block ×3, first 2 shown]
	s_add_i32 s4, s4, -1
	s_waitcnt lgkmcnt(0)
	s_cmp_lg_u32 s4, 0
	s_barrier
	buffer_gl0_inv
	s_cbranch_scc1 .LBB3_1
; %bb.2:
	s_load_b64 s[0:1], s[0:1], 0x10
	v_lshlrev_b32_e32 v0, 2, v0
	s_waitcnt lgkmcnt(0)
	s_add_u32 s0, s0, s2
	s_addc_u32 s1, s1, s3
	s_clause 0x3
	global_store_b32 v0, v1, s[0:1]
	global_store_b32 v0, v2, s[0:1] offset:1024
	global_store_b32 v0, v3, s[0:1] offset:2048
	;; [unrolled: 1-line block ×3, first 2 shown]
	s_nop 0
	s_sendmsg sendmsg(MSG_DEALLOC_VGPRS)
	s_endpgm
	.section	.rodata,"a",@progbits
	.p2align	6, 0x0
	.amdhsa_kernel _Z6kernelI18blocked_to_stripediLj256ELj4ELj100EEvPKT0_PKjPS1_
		.amdhsa_group_segment_fixed_size 4224
		.amdhsa_private_segment_fixed_size 0
		.amdhsa_kernarg_size 24
		.amdhsa_user_sgpr_count 15
		.amdhsa_user_sgpr_dispatch_ptr 0
		.amdhsa_user_sgpr_queue_ptr 0
		.amdhsa_user_sgpr_kernarg_segment_ptr 1
		.amdhsa_user_sgpr_dispatch_id 0
		.amdhsa_user_sgpr_private_segment_size 0
		.amdhsa_wavefront_size32 1
		.amdhsa_uses_dynamic_stack 0
		.amdhsa_enable_private_segment 0
		.amdhsa_system_sgpr_workgroup_id_x 1
		.amdhsa_system_sgpr_workgroup_id_y 0
		.amdhsa_system_sgpr_workgroup_id_z 0
		.amdhsa_system_sgpr_workgroup_info 0
		.amdhsa_system_vgpr_workitem_id 0
		.amdhsa_next_free_vgpr 11
		.amdhsa_next_free_sgpr 16
		.amdhsa_reserve_vcc 0
		.amdhsa_float_round_mode_32 0
		.amdhsa_float_round_mode_16_64 0
		.amdhsa_float_denorm_mode_32 3
		.amdhsa_float_denorm_mode_16_64 3
		.amdhsa_dx10_clamp 1
		.amdhsa_ieee_mode 1
		.amdhsa_fp16_overflow 0
		.amdhsa_workgroup_processor_mode 1
		.amdhsa_memory_ordered 1
		.amdhsa_forward_progress 0
		.amdhsa_shared_vgpr_count 0
		.amdhsa_exception_fp_ieee_invalid_op 0
		.amdhsa_exception_fp_denorm_src 0
		.amdhsa_exception_fp_ieee_div_zero 0
		.amdhsa_exception_fp_ieee_overflow 0
		.amdhsa_exception_fp_ieee_underflow 0
		.amdhsa_exception_fp_ieee_inexact 0
		.amdhsa_exception_int_div_zero 0
	.end_amdhsa_kernel
	.section	.text._Z6kernelI18blocked_to_stripediLj256ELj4ELj100EEvPKT0_PKjPS1_,"axG",@progbits,_Z6kernelI18blocked_to_stripediLj256ELj4ELj100EEvPKT0_PKjPS1_,comdat
.Lfunc_end3:
	.size	_Z6kernelI18blocked_to_stripediLj256ELj4ELj100EEvPKT0_PKjPS1_, .Lfunc_end3-_Z6kernelI18blocked_to_stripediLj256ELj4ELj100EEvPKT0_PKjPS1_
                                        ; -- End function
	.section	.AMDGPU.csdata,"",@progbits
; Kernel info:
; codeLenInByte = 312
; NumSgprs: 16
; NumVgprs: 11
; ScratchSize: 0
; MemoryBound: 0
; FloatMode: 240
; IeeeMode: 1
; LDSByteSize: 4224 bytes/workgroup (compile time only)
; SGPRBlocks: 1
; VGPRBlocks: 1
; NumSGPRsForWavesPerEU: 16
; NumVGPRsForWavesPerEU: 11
; Occupancy: 16
; WaveLimiterHint : 1
; COMPUTE_PGM_RSRC2:SCRATCH_EN: 0
; COMPUTE_PGM_RSRC2:USER_SGPR: 15
; COMPUTE_PGM_RSRC2:TRAP_HANDLER: 0
; COMPUTE_PGM_RSRC2:TGID_X_EN: 1
; COMPUTE_PGM_RSRC2:TGID_Y_EN: 0
; COMPUTE_PGM_RSRC2:TGID_Z_EN: 0
; COMPUTE_PGM_RSRC2:TIDIG_COMP_CNT: 0
	.section	.text._Z6kernelI18blocked_to_stripediLj256ELj7ELj100EEvPKT0_PKjPS1_,"axG",@progbits,_Z6kernelI18blocked_to_stripediLj256ELj7ELj100EEvPKT0_PKjPS1_,comdat
	.protected	_Z6kernelI18blocked_to_stripediLj256ELj7ELj100EEvPKT0_PKjPS1_ ; -- Begin function _Z6kernelI18blocked_to_stripediLj256ELj7ELj100EEvPKT0_PKjPS1_
	.globl	_Z6kernelI18blocked_to_stripediLj256ELj7ELj100EEvPKT0_PKjPS1_
	.p2align	8
	.type	_Z6kernelI18blocked_to_stripediLj256ELj7ELj100EEvPKT0_PKjPS1_,@function
_Z6kernelI18blocked_to_stripediLj256ELj7ELj100EEvPKT0_PKjPS1_: ; @_Z6kernelI18blocked_to_stripediLj256ELj7ELj100EEvPKT0_PKjPS1_
; %bb.0:
	s_load_b64 s[4:5], s[0:1], 0x0
	v_mul_u32_u24_e32 v1, 7, v0
	s_mov_b32 s3, 0
	s_mul_i32 s2, s15, 0x700
	v_mul_i32_i24_e32 v9, 0xffffffe8, v0
	s_lshl_b64 s[2:3], s[2:3], 2
	v_lshlrev_b32_e32 v8, 2, v1
	s_delay_alu instid0(VALU_DEP_1)
	v_add_nc_u32_e32 v9, v8, v9
	s_waitcnt lgkmcnt(0)
	s_add_u32 s4, s4, s2
	s_addc_u32 s5, s5, s3
	s_clause 0x1
	global_load_b128 v[1:4], v8, s[4:5]
	global_load_b96 v[5:7], v8, s[4:5] offset:16
	s_movk_i32 s4, 0x64
	.p2align	6
.LBB4_1:                                ; =>This Inner Loop Header: Depth=1
	s_waitcnt vmcnt(1)
	ds_store_2addr_b32 v8, v1, v2 offset1:1
	ds_store_2addr_b32 v8, v3, v4 offset0:2 offset1:3
	s_waitcnt vmcnt(0)
	ds_store_2addr_b32 v8, v5, v6 offset0:4 offset1:5
	ds_store_b32 v8, v7 offset:24
	s_waitcnt lgkmcnt(0)
	s_barrier
	buffer_gl0_inv
	ds_load_2addr_stride64_b32 v[1:2], v9 offset1:4
	ds_load_2addr_stride64_b32 v[3:4], v9 offset0:8 offset1:12
	ds_load_2addr_stride64_b32 v[5:6], v9 offset0:16 offset1:20
	ds_load_b32 v7, v9 offset:6144
	s_add_i32 s4, s4, -1
	s_waitcnt lgkmcnt(0)
	s_cmp_lg_u32 s4, 0
	s_barrier
	buffer_gl0_inv
	s_cbranch_scc1 .LBB4_1
; %bb.2:
	s_load_b64 s[0:1], s[0:1], 0x10
	v_lshlrev_b32_e32 v0, 2, v0
	s_waitcnt lgkmcnt(0)
	s_add_u32 s0, s0, s2
	s_addc_u32 s1, s1, s3
	s_delay_alu instid0(VALU_DEP_1) | instskip(NEXT) | instid1(VALU_DEP_1)
	v_add_co_u32 v8, s2, s0, v0
	v_add_co_ci_u32_e64 v9, null, s1, 0, s2
	s_delay_alu instid0(VALU_DEP_2) | instskip(NEXT) | instid1(VALU_DEP_2)
	v_add_co_u32 v8, vcc_lo, 0x1000, v8
	v_add_co_ci_u32_e32 v9, vcc_lo, 0, v9, vcc_lo
	s_clause 0x6
	global_store_b32 v0, v1, s[0:1]
	global_store_b32 v0, v2, s[0:1] offset:1024
	global_store_b32 v0, v3, s[0:1] offset:2048
	global_store_b32 v0, v4, s[0:1] offset:3072
	global_store_b32 v[8:9], v5, off
	global_store_b32 v[8:9], v6, off offset:1024
	global_store_b32 v[8:9], v7, off offset:2048
	s_nop 0
	s_sendmsg sendmsg(MSG_DEALLOC_VGPRS)
	s_endpgm
	.section	.rodata,"a",@progbits
	.p2align	6, 0x0
	.amdhsa_kernel _Z6kernelI18blocked_to_stripediLj256ELj7ELj100EEvPKT0_PKjPS1_
		.amdhsa_group_segment_fixed_size 7168
		.amdhsa_private_segment_fixed_size 0
		.amdhsa_kernarg_size 24
		.amdhsa_user_sgpr_count 15
		.amdhsa_user_sgpr_dispatch_ptr 0
		.amdhsa_user_sgpr_queue_ptr 0
		.amdhsa_user_sgpr_kernarg_segment_ptr 1
		.amdhsa_user_sgpr_dispatch_id 0
		.amdhsa_user_sgpr_private_segment_size 0
		.amdhsa_wavefront_size32 1
		.amdhsa_uses_dynamic_stack 0
		.amdhsa_enable_private_segment 0
		.amdhsa_system_sgpr_workgroup_id_x 1
		.amdhsa_system_sgpr_workgroup_id_y 0
		.amdhsa_system_sgpr_workgroup_id_z 0
		.amdhsa_system_sgpr_workgroup_info 0
		.amdhsa_system_vgpr_workitem_id 0
		.amdhsa_next_free_vgpr 10
		.amdhsa_next_free_sgpr 16
		.amdhsa_reserve_vcc 1
		.amdhsa_float_round_mode_32 0
		.amdhsa_float_round_mode_16_64 0
		.amdhsa_float_denorm_mode_32 3
		.amdhsa_float_denorm_mode_16_64 3
		.amdhsa_dx10_clamp 1
		.amdhsa_ieee_mode 1
		.amdhsa_fp16_overflow 0
		.amdhsa_workgroup_processor_mode 1
		.amdhsa_memory_ordered 1
		.amdhsa_forward_progress 0
		.amdhsa_shared_vgpr_count 0
		.amdhsa_exception_fp_ieee_invalid_op 0
		.amdhsa_exception_fp_denorm_src 0
		.amdhsa_exception_fp_ieee_div_zero 0
		.amdhsa_exception_fp_ieee_overflow 0
		.amdhsa_exception_fp_ieee_underflow 0
		.amdhsa_exception_fp_ieee_inexact 0
		.amdhsa_exception_int_div_zero 0
	.end_amdhsa_kernel
	.section	.text._Z6kernelI18blocked_to_stripediLj256ELj7ELj100EEvPKT0_PKjPS1_,"axG",@progbits,_Z6kernelI18blocked_to_stripediLj256ELj7ELj100EEvPKT0_PKjPS1_,comdat
.Lfunc_end4:
	.size	_Z6kernelI18blocked_to_stripediLj256ELj7ELj100EEvPKT0_PKjPS1_, .Lfunc_end4-_Z6kernelI18blocked_to_stripediLj256ELj7ELj100EEvPKT0_PKjPS1_
                                        ; -- End function
	.section	.AMDGPU.csdata,"",@progbits
; Kernel info:
; codeLenInByte = 336
; NumSgprs: 18
; NumVgprs: 10
; ScratchSize: 0
; MemoryBound: 0
; FloatMode: 240
; IeeeMode: 1
; LDSByteSize: 7168 bytes/workgroup (compile time only)
; SGPRBlocks: 2
; VGPRBlocks: 1
; NumSGPRsForWavesPerEU: 18
; NumVGPRsForWavesPerEU: 10
; Occupancy: 16
; WaveLimiterHint : 1
; COMPUTE_PGM_RSRC2:SCRATCH_EN: 0
; COMPUTE_PGM_RSRC2:USER_SGPR: 15
; COMPUTE_PGM_RSRC2:TRAP_HANDLER: 0
; COMPUTE_PGM_RSRC2:TGID_X_EN: 1
; COMPUTE_PGM_RSRC2:TGID_Y_EN: 0
; COMPUTE_PGM_RSRC2:TGID_Z_EN: 0
; COMPUTE_PGM_RSRC2:TIDIG_COMP_CNT: 0
	.section	.text._Z6kernelI18blocked_to_stripediLj256ELj8ELj100EEvPKT0_PKjPS1_,"axG",@progbits,_Z6kernelI18blocked_to_stripediLj256ELj8ELj100EEvPKT0_PKjPS1_,comdat
	.protected	_Z6kernelI18blocked_to_stripediLj256ELj8ELj100EEvPKT0_PKjPS1_ ; -- Begin function _Z6kernelI18blocked_to_stripediLj256ELj8ELj100EEvPKT0_PKjPS1_
	.globl	_Z6kernelI18blocked_to_stripediLj256ELj8ELj100EEvPKT0_PKjPS1_
	.p2align	8
	.type	_Z6kernelI18blocked_to_stripediLj256ELj8ELj100EEvPKT0_PKjPS1_,@function
_Z6kernelI18blocked_to_stripediLj256ELj8ELj100EEvPKT0_PKjPS1_: ; @_Z6kernelI18blocked_to_stripediLj256ELj8ELj100EEvPKT0_PKjPS1_
; %bb.0:
	s_load_b64 s[4:5], s[0:1], 0x0
	s_mov_b32 s3, 0
	s_lshl_b32 s2, s15, 11
	v_lshlrev_b32_e32 v9, 5, v0
	s_lshl_b64 s[2:3], s[2:3], 2
	v_or_b32_e32 v10, 0x100, v0
	v_or_b32_e32 v11, 0x200, v0
	v_and_b32_e32 v12, 0xfc, v0
	v_lshrrev_b32_e32 v13, 5, v0
	v_or_b32_e32 v16, 0x600, v0
	v_lshrrev_b32_e32 v14, 5, v10
	v_lshrrev_b32_e32 v15, 5, v11
	v_or_b32_e32 v17, 0x700, v0
	v_add_lshl_u32 v10, v13, v0, 2
	v_or_b32_e32 v13, 0x300, v0
	v_add_lshl_u32 v11, v14, v0, 2
	v_or_b32_e32 v14, 0x400, v0
	v_lshrrev_b32_e32 v16, 5, v16
	v_lshrrev_b32_e32 v17, 5, v17
	;; [unrolled: 1-line block ×3, first 2 shown]
	s_waitcnt lgkmcnt(0)
	s_add_u32 s4, s4, s2
	s_addc_u32 s5, s5, s3
	v_lshrrev_b32_e32 v14, 5, v14
	s_clause 0x1
	global_load_b128 v[1:4], v9, s[4:5]
	global_load_b128 v[5:8], v9, s[4:5] offset:16
	v_add_nc_u32_e32 v9, v12, v9
	v_add_lshl_u32 v12, v15, v0, 2
	v_or_b32_e32 v15, 0x500, v0
	v_add_lshl_u32 v13, v13, v0, 2
	v_add_lshl_u32 v14, v14, v0, 2
	;; [unrolled: 1-line block ×4, first 2 shown]
	v_lshrrev_b32_e32 v15, 5, v15
	s_movk_i32 s4, 0x64
	s_delay_alu instid0(VALU_DEP_1)
	v_add_lshl_u32 v15, v15, v0, 2
	.p2align	6
.LBB5_1:                                ; =>This Inner Loop Header: Depth=1
	s_waitcnt vmcnt(1)
	ds_store_2addr_b32 v9, v1, v2 offset1:1
	ds_store_2addr_b32 v9, v3, v4 offset0:2 offset1:3
	s_waitcnt vmcnt(0)
	ds_store_2addr_b32 v9, v5, v6 offset0:4 offset1:5
	ds_store_2addr_b32 v9, v7, v8 offset0:6 offset1:7
	s_waitcnt lgkmcnt(0)
	s_barrier
	buffer_gl0_inv
	ds_load_b32 v1, v10
	ds_load_b32 v2, v11 offset:1024
	ds_load_b32 v3, v12 offset:2048
	;; [unrolled: 1-line block ×7, first 2 shown]
	s_add_i32 s4, s4, -1
	s_waitcnt lgkmcnt(0)
	s_cmp_lg_u32 s4, 0
	s_barrier
	buffer_gl0_inv
	s_cbranch_scc1 .LBB5_1
; %bb.2:
	s_load_b64 s[0:1], s[0:1], 0x10
	v_lshlrev_b32_e32 v0, 2, v0
	s_waitcnt lgkmcnt(0)
	s_add_u32 s0, s0, s2
	s_addc_u32 s1, s1, s3
	s_delay_alu instid0(VALU_DEP_1) | instskip(NEXT) | instid1(VALU_DEP_1)
	v_add_co_u32 v9, s2, s0, v0
	v_add_co_ci_u32_e64 v10, null, s1, 0, s2
	s_delay_alu instid0(VALU_DEP_2) | instskip(NEXT) | instid1(VALU_DEP_2)
	v_add_co_u32 v9, vcc_lo, 0x1000, v9
	v_add_co_ci_u32_e32 v10, vcc_lo, 0, v10, vcc_lo
	s_clause 0x7
	global_store_b32 v0, v1, s[0:1]
	global_store_b32 v0, v2, s[0:1] offset:1024
	global_store_b32 v0, v3, s[0:1] offset:2048
	;; [unrolled: 1-line block ×3, first 2 shown]
	global_store_b32 v[9:10], v5, off
	global_store_b32 v[9:10], v6, off offset:1024
	global_store_b32 v[9:10], v7, off offset:2048
	;; [unrolled: 1-line block ×3, first 2 shown]
	s_nop 0
	s_sendmsg sendmsg(MSG_DEALLOC_VGPRS)
	s_endpgm
	.section	.rodata,"a",@progbits
	.p2align	6, 0x0
	.amdhsa_kernel _Z6kernelI18blocked_to_stripediLj256ELj8ELj100EEvPKT0_PKjPS1_
		.amdhsa_group_segment_fixed_size 8448
		.amdhsa_private_segment_fixed_size 0
		.amdhsa_kernarg_size 24
		.amdhsa_user_sgpr_count 15
		.amdhsa_user_sgpr_dispatch_ptr 0
		.amdhsa_user_sgpr_queue_ptr 0
		.amdhsa_user_sgpr_kernarg_segment_ptr 1
		.amdhsa_user_sgpr_dispatch_id 0
		.amdhsa_user_sgpr_private_segment_size 0
		.amdhsa_wavefront_size32 1
		.amdhsa_uses_dynamic_stack 0
		.amdhsa_enable_private_segment 0
		.amdhsa_system_sgpr_workgroup_id_x 1
		.amdhsa_system_sgpr_workgroup_id_y 0
		.amdhsa_system_sgpr_workgroup_id_z 0
		.amdhsa_system_sgpr_workgroup_info 0
		.amdhsa_system_vgpr_workitem_id 0
		.amdhsa_next_free_vgpr 18
		.amdhsa_next_free_sgpr 16
		.amdhsa_reserve_vcc 1
		.amdhsa_float_round_mode_32 0
		.amdhsa_float_round_mode_16_64 0
		.amdhsa_float_denorm_mode_32 3
		.amdhsa_float_denorm_mode_16_64 3
		.amdhsa_dx10_clamp 1
		.amdhsa_ieee_mode 1
		.amdhsa_fp16_overflow 0
		.amdhsa_workgroup_processor_mode 1
		.amdhsa_memory_ordered 1
		.amdhsa_forward_progress 0
		.amdhsa_shared_vgpr_count 0
		.amdhsa_exception_fp_ieee_invalid_op 0
		.amdhsa_exception_fp_denorm_src 0
		.amdhsa_exception_fp_ieee_div_zero 0
		.amdhsa_exception_fp_ieee_overflow 0
		.amdhsa_exception_fp_ieee_underflow 0
		.amdhsa_exception_fp_ieee_inexact 0
		.amdhsa_exception_int_div_zero 0
	.end_amdhsa_kernel
	.section	.text._Z6kernelI18blocked_to_stripediLj256ELj8ELj100EEvPKT0_PKjPS1_,"axG",@progbits,_Z6kernelI18blocked_to_stripediLj256ELj8ELj100EEvPKT0_PKjPS1_,comdat
.Lfunc_end5:
	.size	_Z6kernelI18blocked_to_stripediLj256ELj8ELj100EEvPKT0_PKjPS1_, .Lfunc_end5-_Z6kernelI18blocked_to_stripediLj256ELj8ELj100EEvPKT0_PKjPS1_
                                        ; -- End function
	.section	.AMDGPU.csdata,"",@progbits
; Kernel info:
; codeLenInByte = 520
; NumSgprs: 18
; NumVgprs: 18
; ScratchSize: 0
; MemoryBound: 0
; FloatMode: 240
; IeeeMode: 1
; LDSByteSize: 8448 bytes/workgroup (compile time only)
; SGPRBlocks: 2
; VGPRBlocks: 2
; NumSGPRsForWavesPerEU: 18
; NumVGPRsForWavesPerEU: 18
; Occupancy: 16
; WaveLimiterHint : 1
; COMPUTE_PGM_RSRC2:SCRATCH_EN: 0
; COMPUTE_PGM_RSRC2:USER_SGPR: 15
; COMPUTE_PGM_RSRC2:TRAP_HANDLER: 0
; COMPUTE_PGM_RSRC2:TGID_X_EN: 1
; COMPUTE_PGM_RSRC2:TGID_Y_EN: 0
; COMPUTE_PGM_RSRC2:TGID_Z_EN: 0
; COMPUTE_PGM_RSRC2:TIDIG_COMP_CNT: 0
	.section	.text._Z6kernelI18blocked_to_stripedaLj256ELj1ELj100EEvPKT0_PKjPS1_,"axG",@progbits,_Z6kernelI18blocked_to_stripedaLj256ELj1ELj100EEvPKT0_PKjPS1_,comdat
	.protected	_Z6kernelI18blocked_to_stripedaLj256ELj1ELj100EEvPKT0_PKjPS1_ ; -- Begin function _Z6kernelI18blocked_to_stripedaLj256ELj1ELj100EEvPKT0_PKjPS1_
	.globl	_Z6kernelI18blocked_to_stripedaLj256ELj1ELj100EEvPKT0_PKjPS1_
	.p2align	8
	.type	_Z6kernelI18blocked_to_stripedaLj256ELj1ELj100EEvPKT0_PKjPS1_,@function
_Z6kernelI18blocked_to_stripedaLj256ELj1ELj100EEvPKT0_PKjPS1_: ; @_Z6kernelI18blocked_to_stripedaLj256ELj1ELj100EEvPKT0_PKjPS1_
; %bb.0:
	s_load_b64 s[4:5], s[0:1], 0x0
	s_lshl_b32 s2, s15, 8
	s_movk_i32 s3, 0x64
	s_waitcnt lgkmcnt(0)
	s_add_u32 s4, s4, s2
	s_addc_u32 s5, s5, 0
	global_load_u8 v1, v0, s[4:5]
.LBB6_1:                                ; =>This Inner Loop Header: Depth=1
	s_waitcnt vmcnt(0)
	ds_store_b8 v0, v1
	s_waitcnt lgkmcnt(0)
	s_barrier
	buffer_gl0_inv
	ds_load_u8 v1, v0
	s_add_i32 s3, s3, -1
	s_waitcnt lgkmcnt(0)
	s_cmp_lg_u32 s3, 0
	s_barrier
	buffer_gl0_inv
	s_cbranch_scc1 .LBB6_1
; %bb.2:
	s_load_b64 s[0:1], s[0:1], 0x10
	s_waitcnt lgkmcnt(0)
	s_add_u32 s0, s0, s2
	s_addc_u32 s1, s1, 0
	v_add_co_u32 v2, s0, s0, v0
	s_delay_alu instid0(VALU_DEP_1)
	v_add_co_ci_u32_e64 v3, null, s1, 0, s0
	global_store_b8 v[2:3], v1, off
	s_nop 0
	s_sendmsg sendmsg(MSG_DEALLOC_VGPRS)
	s_endpgm
	.section	.rodata,"a",@progbits
	.p2align	6, 0x0
	.amdhsa_kernel _Z6kernelI18blocked_to_stripedaLj256ELj1ELj100EEvPKT0_PKjPS1_
		.amdhsa_group_segment_fixed_size 256
		.amdhsa_private_segment_fixed_size 0
		.amdhsa_kernarg_size 24
		.amdhsa_user_sgpr_count 15
		.amdhsa_user_sgpr_dispatch_ptr 0
		.amdhsa_user_sgpr_queue_ptr 0
		.amdhsa_user_sgpr_kernarg_segment_ptr 1
		.amdhsa_user_sgpr_dispatch_id 0
		.amdhsa_user_sgpr_private_segment_size 0
		.amdhsa_wavefront_size32 1
		.amdhsa_uses_dynamic_stack 0
		.amdhsa_enable_private_segment 0
		.amdhsa_system_sgpr_workgroup_id_x 1
		.amdhsa_system_sgpr_workgroup_id_y 0
		.amdhsa_system_sgpr_workgroup_id_z 0
		.amdhsa_system_sgpr_workgroup_info 0
		.amdhsa_system_vgpr_workitem_id 0
		.amdhsa_next_free_vgpr 4
		.amdhsa_next_free_sgpr 16
		.amdhsa_reserve_vcc 0
		.amdhsa_float_round_mode_32 0
		.amdhsa_float_round_mode_16_64 0
		.amdhsa_float_denorm_mode_32 3
		.amdhsa_float_denorm_mode_16_64 3
		.amdhsa_dx10_clamp 1
		.amdhsa_ieee_mode 1
		.amdhsa_fp16_overflow 0
		.amdhsa_workgroup_processor_mode 1
		.amdhsa_memory_ordered 1
		.amdhsa_forward_progress 0
		.amdhsa_shared_vgpr_count 0
		.amdhsa_exception_fp_ieee_invalid_op 0
		.amdhsa_exception_fp_denorm_src 0
		.amdhsa_exception_fp_ieee_div_zero 0
		.amdhsa_exception_fp_ieee_overflow 0
		.amdhsa_exception_fp_ieee_underflow 0
		.amdhsa_exception_fp_ieee_inexact 0
		.amdhsa_exception_int_div_zero 0
	.end_amdhsa_kernel
	.section	.text._Z6kernelI18blocked_to_stripedaLj256ELj1ELj100EEvPKT0_PKjPS1_,"axG",@progbits,_Z6kernelI18blocked_to_stripedaLj256ELj1ELj100EEvPKT0_PKjPS1_,comdat
.Lfunc_end6:
	.size	_Z6kernelI18blocked_to_stripedaLj256ELj1ELj100EEvPKT0_PKjPS1_, .Lfunc_end6-_Z6kernelI18blocked_to_stripedaLj256ELj1ELj100EEvPKT0_PKjPS1_
                                        ; -- End function
	.section	.AMDGPU.csdata,"",@progbits
; Kernel info:
; codeLenInByte = 160
; NumSgprs: 16
; NumVgprs: 4
; ScratchSize: 0
; MemoryBound: 0
; FloatMode: 240
; IeeeMode: 1
; LDSByteSize: 256 bytes/workgroup (compile time only)
; SGPRBlocks: 1
; VGPRBlocks: 0
; NumSGPRsForWavesPerEU: 16
; NumVGPRsForWavesPerEU: 4
; Occupancy: 16
; WaveLimiterHint : 0
; COMPUTE_PGM_RSRC2:SCRATCH_EN: 0
; COMPUTE_PGM_RSRC2:USER_SGPR: 15
; COMPUTE_PGM_RSRC2:TRAP_HANDLER: 0
; COMPUTE_PGM_RSRC2:TGID_X_EN: 1
; COMPUTE_PGM_RSRC2:TGID_Y_EN: 0
; COMPUTE_PGM_RSRC2:TGID_Z_EN: 0
; COMPUTE_PGM_RSRC2:TIDIG_COMP_CNT: 0
	.section	.text._Z6kernelI18blocked_to_stripedaLj256ELj2ELj100EEvPKT0_PKjPS1_,"axG",@progbits,_Z6kernelI18blocked_to_stripedaLj256ELj2ELj100EEvPKT0_PKjPS1_,comdat
	.protected	_Z6kernelI18blocked_to_stripedaLj256ELj2ELj100EEvPKT0_PKjPS1_ ; -- Begin function _Z6kernelI18blocked_to_stripedaLj256ELj2ELj100EEvPKT0_PKjPS1_
	.globl	_Z6kernelI18blocked_to_stripedaLj256ELj2ELj100EEvPKT0_PKjPS1_
	.p2align	8
	.type	_Z6kernelI18blocked_to_stripedaLj256ELj2ELj100EEvPKT0_PKjPS1_,@function
_Z6kernelI18blocked_to_stripedaLj256ELj2ELj100EEvPKT0_PKjPS1_: ; @_Z6kernelI18blocked_to_stripedaLj256ELj2ELj100EEvPKT0_PKjPS1_
; %bb.0:
	s_load_b64 s[4:5], s[0:1], 0x0
	s_lshl_b32 s2, s15, 9
	v_lshlrev_b32_e32 v2, 1, v0
	v_or_b32_e32 v3, 0x100, v0
	v_lshrrev_b32_e32 v4, 4, v0
	v_lshrrev_b32_e32 v5, 5, v0
	s_movk_i32 s3, 0x64
	s_delay_alu instid0(VALU_DEP_3) | instskip(NEXT) | instid1(VALU_DEP_3)
	v_lshrrev_b32_e32 v3, 5, v3
	v_and_b32_e32 v4, 12, v4
	s_delay_alu instid0(VALU_DEP_3) | instskip(NEXT) | instid1(VALU_DEP_3)
	v_and_b32_e32 v5, 4, v5
	v_and_b32_e32 v6, 12, v3
	s_delay_alu instid0(VALU_DEP_2)
	v_add_nc_u32_e32 v3, v5, v0
	s_waitcnt lgkmcnt(0)
	s_add_u32 s4, s4, s2
	s_addc_u32 s5, s5, 0
	global_load_u16 v1, v2, s[4:5]
	v_add_nc_u32_e32 v2, v4, v2
	v_add_nc_u32_e32 v4, v6, v0
.LBB7_1:                                ; =>This Inner Loop Header: Depth=1
	s_waitcnt vmcnt(0)
	ds_store_b16 v2, v1
	s_waitcnt lgkmcnt(0)
	s_barrier
	buffer_gl0_inv
	ds_load_u8 v5, v4 offset:256
	ds_load_u8 v6, v3
	s_add_i32 s3, s3, -1
	s_waitcnt lgkmcnt(0)
	s_cmp_lg_u32 s3, 0
	s_barrier
	buffer_gl0_inv
	v_lshlrev_b16 v1, 8, v5
	s_delay_alu instid0(VALU_DEP_1) | instskip(NEXT) | instid1(VALU_DEP_1)
	v_or_b32_e32 v1, v6, v1
	v_and_b32_e32 v1, 0xffff, v1
	s_cbranch_scc1 .LBB7_1
; %bb.2:
	s_load_b64 s[0:1], s[0:1], 0x10
	s_waitcnt lgkmcnt(0)
	s_add_u32 s0, s0, s2
	s_addc_u32 s1, s1, 0
	s_clause 0x1
	global_store_b8 v0, v6, s[0:1]
	global_store_b8 v0, v5, s[0:1] offset:256
	s_nop 0
	s_sendmsg sendmsg(MSG_DEALLOC_VGPRS)
	s_endpgm
	.section	.rodata,"a",@progbits
	.p2align	6, 0x0
	.amdhsa_kernel _Z6kernelI18blocked_to_stripedaLj256ELj2ELj100EEvPKT0_PKjPS1_
		.amdhsa_group_segment_fixed_size 528
		.amdhsa_private_segment_fixed_size 0
		.amdhsa_kernarg_size 24
		.amdhsa_user_sgpr_count 15
		.amdhsa_user_sgpr_dispatch_ptr 0
		.amdhsa_user_sgpr_queue_ptr 0
		.amdhsa_user_sgpr_kernarg_segment_ptr 1
		.amdhsa_user_sgpr_dispatch_id 0
		.amdhsa_user_sgpr_private_segment_size 0
		.amdhsa_wavefront_size32 1
		.amdhsa_uses_dynamic_stack 0
		.amdhsa_enable_private_segment 0
		.amdhsa_system_sgpr_workgroup_id_x 1
		.amdhsa_system_sgpr_workgroup_id_y 0
		.amdhsa_system_sgpr_workgroup_id_z 0
		.amdhsa_system_sgpr_workgroup_info 0
		.amdhsa_system_vgpr_workitem_id 0
		.amdhsa_next_free_vgpr 7
		.amdhsa_next_free_sgpr 16
		.amdhsa_reserve_vcc 0
		.amdhsa_float_round_mode_32 0
		.amdhsa_float_round_mode_16_64 0
		.amdhsa_float_denorm_mode_32 3
		.amdhsa_float_denorm_mode_16_64 3
		.amdhsa_dx10_clamp 1
		.amdhsa_ieee_mode 1
		.amdhsa_fp16_overflow 0
		.amdhsa_workgroup_processor_mode 1
		.amdhsa_memory_ordered 1
		.amdhsa_forward_progress 0
		.amdhsa_shared_vgpr_count 0
		.amdhsa_exception_fp_ieee_invalid_op 0
		.amdhsa_exception_fp_denorm_src 0
		.amdhsa_exception_fp_ieee_div_zero 0
		.amdhsa_exception_fp_ieee_overflow 0
		.amdhsa_exception_fp_ieee_underflow 0
		.amdhsa_exception_fp_ieee_inexact 0
		.amdhsa_exception_int_div_zero 0
	.end_amdhsa_kernel
	.section	.text._Z6kernelI18blocked_to_stripedaLj256ELj2ELj100EEvPKT0_PKjPS1_,"axG",@progbits,_Z6kernelI18blocked_to_stripedaLj256ELj2ELj100EEvPKT0_PKjPS1_,comdat
.Lfunc_end7:
	.size	_Z6kernelI18blocked_to_stripedaLj256ELj2ELj100EEvPKT0_PKjPS1_, .Lfunc_end7-_Z6kernelI18blocked_to_stripedaLj256ELj2ELj100EEvPKT0_PKjPS1_
                                        ; -- End function
	.section	.AMDGPU.csdata,"",@progbits
; Kernel info:
; codeLenInByte = 244
; NumSgprs: 16
; NumVgprs: 7
; ScratchSize: 0
; MemoryBound: 0
; FloatMode: 240
; IeeeMode: 1
; LDSByteSize: 528 bytes/workgroup (compile time only)
; SGPRBlocks: 1
; VGPRBlocks: 0
; NumSGPRsForWavesPerEU: 16
; NumVGPRsForWavesPerEU: 7
; Occupancy: 16
; WaveLimiterHint : 1
; COMPUTE_PGM_RSRC2:SCRATCH_EN: 0
; COMPUTE_PGM_RSRC2:USER_SGPR: 15
; COMPUTE_PGM_RSRC2:TRAP_HANDLER: 0
; COMPUTE_PGM_RSRC2:TGID_X_EN: 1
; COMPUTE_PGM_RSRC2:TGID_Y_EN: 0
; COMPUTE_PGM_RSRC2:TGID_Z_EN: 0
; COMPUTE_PGM_RSRC2:TIDIG_COMP_CNT: 0
	.section	.text._Z6kernelI18blocked_to_stripedaLj256ELj3ELj100EEvPKT0_PKjPS1_,"axG",@progbits,_Z6kernelI18blocked_to_stripedaLj256ELj3ELj100EEvPKT0_PKjPS1_,comdat
	.protected	_Z6kernelI18blocked_to_stripedaLj256ELj3ELj100EEvPKT0_PKjPS1_ ; -- Begin function _Z6kernelI18blocked_to_stripedaLj256ELj3ELj100EEvPKT0_PKjPS1_
	.globl	_Z6kernelI18blocked_to_stripedaLj256ELj3ELj100EEvPKT0_PKjPS1_
	.p2align	8
	.type	_Z6kernelI18blocked_to_stripedaLj256ELj3ELj100EEvPKT0_PKjPS1_,@function
_Z6kernelI18blocked_to_stripedaLj256ELj3ELj100EEvPKT0_PKjPS1_: ; @_Z6kernelI18blocked_to_stripedaLj256ELj3ELj100EEvPKT0_PKjPS1_
; %bb.0:
	s_load_b64 s[4:5], s[0:1], 0x0
	s_mul_i32 s2, s15, 0x300
	v_mul_u32_u24_e32 v1, 3, v0
	s_movk_i32 s3, 0x64
	s_waitcnt lgkmcnt(0)
	s_add_u32 s4, s4, s2
	s_addc_u32 s5, s5, 0
	s_clause 0x1
	global_load_u16 v2, v1, s[4:5]
	global_load_u8 v3, v1, s[4:5] offset:2
	s_waitcnt vmcnt(1)
	v_lshrrev_b32_e32 v4, 8, v2
	v_and_b32_e32 v2, 0xff, v2
	s_delay_alu instid0(VALU_DEP_2) | instskip(NEXT) | instid1(VALU_DEP_1)
	v_lshlrev_b16 v4, 8, v4
	v_or_b32_e32 v2, v2, v4
	s_delay_alu instid0(VALU_DEP_1) | instskip(SKIP_1) | instid1(VALU_DEP_1)
	v_and_b32_e32 v2, 0xffff, v2
	s_waitcnt vmcnt(0)
	v_lshl_or_b32 v5, v3, 16, v2
	.p2align	6
.LBB8_1:                                ; =>This Inner Loop Header: Depth=1
	s_delay_alu instid0(VALU_DEP_1)
	v_lshrrev_b32_e32 v2, 8, v5
	s_add_i32 s3, s3, -1
	ds_store_b8 v1, v5
	ds_store_b8 v1, v2 offset:1
	ds_store_b8_d16_hi v1, v5 offset:2
	s_waitcnt lgkmcnt(0)
	s_barrier
	buffer_gl0_inv
	ds_load_u8 v2, v0 offset:256
	ds_load_u8 v4, v0
	ds_load_u8 v3, v0 offset:512
	s_cmp_lg_u32 s3, 0
	s_waitcnt lgkmcnt(0)
	s_barrier
	buffer_gl0_inv
	v_lshlrev_b16 v5, 8, v2
	v_lshlrev_b32_e32 v6, 16, v3
	s_delay_alu instid0(VALU_DEP_2) | instskip(NEXT) | instid1(VALU_DEP_1)
	v_or_b32_e32 v5, v4, v5
	v_and_b32_e32 v5, 0xffff, v5
	s_delay_alu instid0(VALU_DEP_1)
	v_or_b32_e32 v5, v5, v6
	s_cbranch_scc1 .LBB8_1
; %bb.2:
	s_load_b64 s[0:1], s[0:1], 0x10
	s_waitcnt lgkmcnt(0)
	s_add_u32 s0, s0, s2
	s_addc_u32 s1, s1, 0
	s_clause 0x2
	global_store_b8 v0, v4, s[0:1]
	global_store_b8 v0, v2, s[0:1] offset:256
	global_store_b8 v0, v3, s[0:1] offset:512
	s_nop 0
	s_sendmsg sendmsg(MSG_DEALLOC_VGPRS)
	s_endpgm
	.section	.rodata,"a",@progbits
	.p2align	6, 0x0
	.amdhsa_kernel _Z6kernelI18blocked_to_stripedaLj256ELj3ELj100EEvPKT0_PKjPS1_
		.amdhsa_group_segment_fixed_size 768
		.amdhsa_private_segment_fixed_size 0
		.amdhsa_kernarg_size 24
		.amdhsa_user_sgpr_count 15
		.amdhsa_user_sgpr_dispatch_ptr 0
		.amdhsa_user_sgpr_queue_ptr 0
		.amdhsa_user_sgpr_kernarg_segment_ptr 1
		.amdhsa_user_sgpr_dispatch_id 0
		.amdhsa_user_sgpr_private_segment_size 0
		.amdhsa_wavefront_size32 1
		.amdhsa_uses_dynamic_stack 0
		.amdhsa_enable_private_segment 0
		.amdhsa_system_sgpr_workgroup_id_x 1
		.amdhsa_system_sgpr_workgroup_id_y 0
		.amdhsa_system_sgpr_workgroup_id_z 0
		.amdhsa_system_sgpr_workgroup_info 0
		.amdhsa_system_vgpr_workitem_id 0
		.amdhsa_next_free_vgpr 7
		.amdhsa_next_free_sgpr 16
		.amdhsa_reserve_vcc 0
		.amdhsa_float_round_mode_32 0
		.amdhsa_float_round_mode_16_64 0
		.amdhsa_float_denorm_mode_32 3
		.amdhsa_float_denorm_mode_16_64 3
		.amdhsa_dx10_clamp 1
		.amdhsa_ieee_mode 1
		.amdhsa_fp16_overflow 0
		.amdhsa_workgroup_processor_mode 1
		.amdhsa_memory_ordered 1
		.amdhsa_forward_progress 0
		.amdhsa_shared_vgpr_count 0
		.amdhsa_exception_fp_ieee_invalid_op 0
		.amdhsa_exception_fp_denorm_src 0
		.amdhsa_exception_fp_ieee_div_zero 0
		.amdhsa_exception_fp_ieee_overflow 0
		.amdhsa_exception_fp_ieee_underflow 0
		.amdhsa_exception_fp_ieee_inexact 0
		.amdhsa_exception_int_div_zero 0
	.end_amdhsa_kernel
	.section	.text._Z6kernelI18blocked_to_stripedaLj256ELj3ELj100EEvPKT0_PKjPS1_,"axG",@progbits,_Z6kernelI18blocked_to_stripedaLj256ELj3ELj100EEvPKT0_PKjPS1_,comdat
.Lfunc_end8:
	.size	_Z6kernelI18blocked_to_stripedaLj256ELj3ELj100EEvPKT0_PKjPS1_, .Lfunc_end8-_Z6kernelI18blocked_to_stripedaLj256ELj3ELj100EEvPKT0_PKjPS1_
                                        ; -- End function
	.section	.AMDGPU.csdata,"",@progbits
; Kernel info:
; codeLenInByte = 308
; NumSgprs: 16
; NumVgprs: 7
; ScratchSize: 0
; MemoryBound: 0
; FloatMode: 240
; IeeeMode: 1
; LDSByteSize: 768 bytes/workgroup (compile time only)
; SGPRBlocks: 1
; VGPRBlocks: 0
; NumSGPRsForWavesPerEU: 16
; NumVGPRsForWavesPerEU: 7
; Occupancy: 16
; WaveLimiterHint : 1
; COMPUTE_PGM_RSRC2:SCRATCH_EN: 0
; COMPUTE_PGM_RSRC2:USER_SGPR: 15
; COMPUTE_PGM_RSRC2:TRAP_HANDLER: 0
; COMPUTE_PGM_RSRC2:TGID_X_EN: 1
; COMPUTE_PGM_RSRC2:TGID_Y_EN: 0
; COMPUTE_PGM_RSRC2:TGID_Z_EN: 0
; COMPUTE_PGM_RSRC2:TIDIG_COMP_CNT: 0
	.section	.text._Z6kernelI18blocked_to_stripedaLj256ELj4ELj100EEvPKT0_PKjPS1_,"axG",@progbits,_Z6kernelI18blocked_to_stripedaLj256ELj4ELj100EEvPKT0_PKjPS1_,comdat
	.protected	_Z6kernelI18blocked_to_stripedaLj256ELj4ELj100EEvPKT0_PKjPS1_ ; -- Begin function _Z6kernelI18blocked_to_stripedaLj256ELj4ELj100EEvPKT0_PKjPS1_
	.globl	_Z6kernelI18blocked_to_stripedaLj256ELj4ELj100EEvPKT0_PKjPS1_
	.p2align	8
	.type	_Z6kernelI18blocked_to_stripedaLj256ELj4ELj100EEvPKT0_PKjPS1_,@function
_Z6kernelI18blocked_to_stripedaLj256ELj4ELj100EEvPKT0_PKjPS1_: ; @_Z6kernelI18blocked_to_stripedaLj256ELj4ELj100EEvPKT0_PKjPS1_
; %bb.0:
	s_load_b64 s[4:5], s[0:1], 0x0
	s_lshl_b32 s2, s15, 10
	v_lshlrev_b32_e32 v6, 2, v0
	v_or_b32_e32 v2, 0x100, v0
	v_or_b32_e32 v3, 0x200, v0
	;; [unrolled: 1-line block ×3, first 2 shown]
	v_lshrrev_b32_e32 v5, 5, v0
	v_lshrrev_b32_e32 v7, 3, v0
	;; [unrolled: 1-line block ×5, first 2 shown]
	v_and_b32_e32 v5, 4, v5
	v_and_b32_e32 v7, 28, v7
	;; [unrolled: 1-line block ×5, first 2 shown]
	v_add_nc_u32_e32 v2, v5, v0
	s_movk_i32 s3, 0x64
	v_add_nc_u32_e32 v3, v8, v0
	v_add_nc_u32_e32 v4, v9, v0
	s_waitcnt lgkmcnt(0)
	s_add_u32 s4, s4, s2
	s_addc_u32 s5, s5, 0
	v_add_nc_u32_e32 v5, v10, v0
	global_load_b32 v1, v6, s[4:5]
	v_add_nc_u32_e32 v6, v7, v6
	.p2align	6
.LBB9_1:                                ; =>This Inner Loop Header: Depth=1
	s_waitcnt vmcnt(0)
	ds_store_b32 v6, v1
	s_waitcnt lgkmcnt(0)
	s_barrier
	buffer_gl0_inv
	ds_load_u8 v7, v3 offset:256
	ds_load_u8 v8, v5 offset:768
	ds_load_u8 v10, v2
	ds_load_u8 v9, v4 offset:512
	s_add_i32 s3, s3, -1
	s_waitcnt lgkmcnt(0)
	s_cmp_lg_u32 s3, 0
	s_barrier
	buffer_gl0_inv
	v_lshlrev_b16 v1, 8, v7
	v_lshlrev_b16 v11, 8, v8
	s_delay_alu instid0(VALU_DEP_2) | instskip(NEXT) | instid1(VALU_DEP_2)
	v_or_b32_e32 v1, v10, v1
	v_or_b32_e32 v11, v9, v11
	s_delay_alu instid0(VALU_DEP_2) | instskip(NEXT) | instid1(VALU_DEP_2)
	v_and_b32_e32 v1, 0xffff, v1
	v_lshlrev_b32_e32 v11, 16, v11
	s_delay_alu instid0(VALU_DEP_1)
	v_or_b32_e32 v1, v1, v11
	s_cbranch_scc1 .LBB9_1
; %bb.2:
	s_load_b64 s[0:1], s[0:1], 0x10
	s_waitcnt lgkmcnt(0)
	s_add_u32 s0, s0, s2
	s_addc_u32 s1, s1, 0
	s_clause 0x3
	global_store_b8 v0, v10, s[0:1]
	global_store_b8 v0, v7, s[0:1] offset:256
	global_store_b8 v0, v9, s[0:1] offset:512
	;; [unrolled: 1-line block ×3, first 2 shown]
	s_nop 0
	s_sendmsg sendmsg(MSG_DEALLOC_VGPRS)
	s_endpgm
	.section	.rodata,"a",@progbits
	.p2align	6, 0x0
	.amdhsa_kernel _Z6kernelI18blocked_to_stripedaLj256ELj4ELj100EEvPKT0_PKjPS1_
		.amdhsa_group_segment_fixed_size 1056
		.amdhsa_private_segment_fixed_size 0
		.amdhsa_kernarg_size 24
		.amdhsa_user_sgpr_count 15
		.amdhsa_user_sgpr_dispatch_ptr 0
		.amdhsa_user_sgpr_queue_ptr 0
		.amdhsa_user_sgpr_kernarg_segment_ptr 1
		.amdhsa_user_sgpr_dispatch_id 0
		.amdhsa_user_sgpr_private_segment_size 0
		.amdhsa_wavefront_size32 1
		.amdhsa_uses_dynamic_stack 0
		.amdhsa_enable_private_segment 0
		.amdhsa_system_sgpr_workgroup_id_x 1
		.amdhsa_system_sgpr_workgroup_id_y 0
		.amdhsa_system_sgpr_workgroup_id_z 0
		.amdhsa_system_sgpr_workgroup_info 0
		.amdhsa_system_vgpr_workitem_id 0
		.amdhsa_next_free_vgpr 12
		.amdhsa_next_free_sgpr 16
		.amdhsa_reserve_vcc 0
		.amdhsa_float_round_mode_32 0
		.amdhsa_float_round_mode_16_64 0
		.amdhsa_float_denorm_mode_32 3
		.amdhsa_float_denorm_mode_16_64 3
		.amdhsa_dx10_clamp 1
		.amdhsa_ieee_mode 1
		.amdhsa_fp16_overflow 0
		.amdhsa_workgroup_processor_mode 1
		.amdhsa_memory_ordered 1
		.amdhsa_forward_progress 0
		.amdhsa_shared_vgpr_count 0
		.amdhsa_exception_fp_ieee_invalid_op 0
		.amdhsa_exception_fp_denorm_src 0
		.amdhsa_exception_fp_ieee_div_zero 0
		.amdhsa_exception_fp_ieee_overflow 0
		.amdhsa_exception_fp_ieee_underflow 0
		.amdhsa_exception_fp_ieee_inexact 0
		.amdhsa_exception_int_div_zero 0
	.end_amdhsa_kernel
	.section	.text._Z6kernelI18blocked_to_stripedaLj256ELj4ELj100EEvPKT0_PKjPS1_,"axG",@progbits,_Z6kernelI18blocked_to_stripedaLj256ELj4ELj100EEvPKT0_PKjPS1_,comdat
.Lfunc_end9:
	.size	_Z6kernelI18blocked_to_stripedaLj256ELj4ELj100EEvPKT0_PKjPS1_, .Lfunc_end9-_Z6kernelI18blocked_to_stripedaLj256ELj4ELj100EEvPKT0_PKjPS1_
                                        ; -- End function
	.section	.AMDGPU.csdata,"",@progbits
; Kernel info:
; codeLenInByte = 332
; NumSgprs: 16
; NumVgprs: 12
; ScratchSize: 0
; MemoryBound: 0
; FloatMode: 240
; IeeeMode: 1
; LDSByteSize: 1056 bytes/workgroup (compile time only)
; SGPRBlocks: 1
; VGPRBlocks: 1
; NumSGPRsForWavesPerEU: 16
; NumVGPRsForWavesPerEU: 12
; Occupancy: 16
; WaveLimiterHint : 1
; COMPUTE_PGM_RSRC2:SCRATCH_EN: 0
; COMPUTE_PGM_RSRC2:USER_SGPR: 15
; COMPUTE_PGM_RSRC2:TRAP_HANDLER: 0
; COMPUTE_PGM_RSRC2:TGID_X_EN: 1
; COMPUTE_PGM_RSRC2:TGID_Y_EN: 0
; COMPUTE_PGM_RSRC2:TGID_Z_EN: 0
; COMPUTE_PGM_RSRC2:TIDIG_COMP_CNT: 0
	.section	.text._Z6kernelI18blocked_to_stripedaLj256ELj7ELj100EEvPKT0_PKjPS1_,"axG",@progbits,_Z6kernelI18blocked_to_stripedaLj256ELj7ELj100EEvPKT0_PKjPS1_,comdat
	.protected	_Z6kernelI18blocked_to_stripedaLj256ELj7ELj100EEvPKT0_PKjPS1_ ; -- Begin function _Z6kernelI18blocked_to_stripedaLj256ELj7ELj100EEvPKT0_PKjPS1_
	.globl	_Z6kernelI18blocked_to_stripedaLj256ELj7ELj100EEvPKT0_PKjPS1_
	.p2align	8
	.type	_Z6kernelI18blocked_to_stripedaLj256ELj7ELj100EEvPKT0_PKjPS1_,@function
_Z6kernelI18blocked_to_stripedaLj256ELj7ELj100EEvPKT0_PKjPS1_: ; @_Z6kernelI18blocked_to_stripedaLj256ELj7ELj100EEvPKT0_PKjPS1_
; %bb.0:
	s_load_b64 s[4:5], s[0:1], 0x0
	s_mul_i32 s2, s15, 0x700
	v_mul_u32_u24_e32 v1, 7, v0
	s_movk_i32 s3, 0x64
	s_waitcnt lgkmcnt(0)
	s_add_u32 s4, s4, s2
	s_addc_u32 s5, s5, 0
	s_clause 0x2
	global_load_u16 v3, v1, s[4:5] offset:4
	global_load_b32 v5, v1, s[4:5]
	global_load_i8 v2, v1, s[4:5] offset:6
	s_waitcnt vmcnt(2)
	v_and_b32_e32 v4, 0xffff, v3
	s_waitcnt vmcnt(1)
	v_perm_b32 v9, v5, v5, 0x3020104
	s_delay_alu instid0(VALU_DEP_2)
	v_lshrrev_b32_e32 v4, 8, v4
	s_set_inst_prefetch_distance 0x1
	.p2align	6
.LBB10_1:                               ; =>This Inner Loop Header: Depth=1
	s_delay_alu instid0(VALU_DEP_1)
	v_lshrrev_b32_e32 v5, 8, v9
	v_lshrrev_b32_e32 v6, 24, v9
	s_add_i32 s3, s3, -1
	ds_store_b8 v1, v9
	ds_store_b8 v1, v5 offset:1
	ds_store_b8_d16_hi v1, v9 offset:2
	ds_store_b8 v1, v6 offset:3
	ds_store_b8 v1, v3 offset:4
	;; [unrolled: 1-line block ×3, first 2 shown]
	s_waitcnt vmcnt(0)
	ds_store_b8 v1, v2 offset:6
	s_waitcnt lgkmcnt(0)
	s_barrier
	buffer_gl0_inv
	ds_load_u8 v5, v0 offset:256
	ds_load_u8 v6, v0 offset:768
	ds_load_u8 v8, v0
	ds_load_u8 v7, v0 offset:512
	ds_load_u8 v3, v0 offset:1024
	;; [unrolled: 1-line block ×4, first 2 shown]
	s_cmp_lg_u32 s3, 0
	s_waitcnt lgkmcnt(0)
	s_barrier
	buffer_gl0_inv
	v_lshlrev_b16 v9, 8, v5
	v_lshlrev_b16 v10, 8, v6
	s_delay_alu instid0(VALU_DEP_2) | instskip(NEXT) | instid1(VALU_DEP_2)
	v_or_b32_e32 v9, v8, v9
	v_or_b32_e32 v10, v7, v10
	s_delay_alu instid0(VALU_DEP_2) | instskip(NEXT) | instid1(VALU_DEP_2)
	v_and_b32_e32 v9, 0xffff, v9
	v_lshlrev_b32_e32 v10, 16, v10
	s_delay_alu instid0(VALU_DEP_1)
	v_or_b32_e32 v9, v9, v10
	s_cbranch_scc1 .LBB10_1
; %bb.2:
	s_set_inst_prefetch_distance 0x2
	s_load_b64 s[0:1], s[0:1], 0x10
	s_waitcnt lgkmcnt(0)
	s_add_u32 s0, s0, s2
	s_addc_u32 s1, s1, 0
	s_clause 0x6
	global_store_b8 v0, v8, s[0:1]
	global_store_b8 v0, v5, s[0:1] offset:256
	global_store_b8 v0, v7, s[0:1] offset:512
	;; [unrolled: 1-line block ×6, first 2 shown]
	s_nop 0
	s_sendmsg sendmsg(MSG_DEALLOC_VGPRS)
	s_endpgm
	.section	.rodata,"a",@progbits
	.p2align	6, 0x0
	.amdhsa_kernel _Z6kernelI18blocked_to_stripedaLj256ELj7ELj100EEvPKT0_PKjPS1_
		.amdhsa_group_segment_fixed_size 1792
		.amdhsa_private_segment_fixed_size 0
		.amdhsa_kernarg_size 24
		.amdhsa_user_sgpr_count 15
		.amdhsa_user_sgpr_dispatch_ptr 0
		.amdhsa_user_sgpr_queue_ptr 0
		.amdhsa_user_sgpr_kernarg_segment_ptr 1
		.amdhsa_user_sgpr_dispatch_id 0
		.amdhsa_user_sgpr_private_segment_size 0
		.amdhsa_wavefront_size32 1
		.amdhsa_uses_dynamic_stack 0
		.amdhsa_enable_private_segment 0
		.amdhsa_system_sgpr_workgroup_id_x 1
		.amdhsa_system_sgpr_workgroup_id_y 0
		.amdhsa_system_sgpr_workgroup_id_z 0
		.amdhsa_system_sgpr_workgroup_info 0
		.amdhsa_system_vgpr_workitem_id 0
		.amdhsa_next_free_vgpr 11
		.amdhsa_next_free_sgpr 16
		.amdhsa_reserve_vcc 0
		.amdhsa_float_round_mode_32 0
		.amdhsa_float_round_mode_16_64 0
		.amdhsa_float_denorm_mode_32 3
		.amdhsa_float_denorm_mode_16_64 3
		.amdhsa_dx10_clamp 1
		.amdhsa_ieee_mode 1
		.amdhsa_fp16_overflow 0
		.amdhsa_workgroup_processor_mode 1
		.amdhsa_memory_ordered 1
		.amdhsa_forward_progress 0
		.amdhsa_shared_vgpr_count 0
		.amdhsa_exception_fp_ieee_invalid_op 0
		.amdhsa_exception_fp_denorm_src 0
		.amdhsa_exception_fp_ieee_div_zero 0
		.amdhsa_exception_fp_ieee_overflow 0
		.amdhsa_exception_fp_ieee_underflow 0
		.amdhsa_exception_fp_ieee_inexact 0
		.amdhsa_exception_int_div_zero 0
	.end_amdhsa_kernel
	.section	.text._Z6kernelI18blocked_to_stripedaLj256ELj7ELj100EEvPKT0_PKjPS1_,"axG",@progbits,_Z6kernelI18blocked_to_stripedaLj256ELj7ELj100EEvPKT0_PKjPS1_,comdat
.Lfunc_end10:
	.size	_Z6kernelI18blocked_to_stripedaLj256ELj7ELj100EEvPKT0_PKjPS1_, .Lfunc_end10-_Z6kernelI18blocked_to_stripedaLj256ELj7ELj100EEvPKT0_PKjPS1_
                                        ; -- End function
	.section	.AMDGPU.csdata,"",@progbits
; Kernel info:
; codeLenInByte = 424
; NumSgprs: 16
; NumVgprs: 11
; ScratchSize: 0
; MemoryBound: 0
; FloatMode: 240
; IeeeMode: 1
; LDSByteSize: 1792 bytes/workgroup (compile time only)
; SGPRBlocks: 1
; VGPRBlocks: 1
; NumSGPRsForWavesPerEU: 16
; NumVGPRsForWavesPerEU: 11
; Occupancy: 16
; WaveLimiterHint : 1
; COMPUTE_PGM_RSRC2:SCRATCH_EN: 0
; COMPUTE_PGM_RSRC2:USER_SGPR: 15
; COMPUTE_PGM_RSRC2:TRAP_HANDLER: 0
; COMPUTE_PGM_RSRC2:TGID_X_EN: 1
; COMPUTE_PGM_RSRC2:TGID_Y_EN: 0
; COMPUTE_PGM_RSRC2:TGID_Z_EN: 0
; COMPUTE_PGM_RSRC2:TIDIG_COMP_CNT: 0
	.section	.text._Z6kernelI18blocked_to_stripedaLj256ELj8ELj100EEvPKT0_PKjPS1_,"axG",@progbits,_Z6kernelI18blocked_to_stripedaLj256ELj8ELj100EEvPKT0_PKjPS1_,comdat
	.protected	_Z6kernelI18blocked_to_stripedaLj256ELj8ELj100EEvPKT0_PKjPS1_ ; -- Begin function _Z6kernelI18blocked_to_stripedaLj256ELj8ELj100EEvPKT0_PKjPS1_
	.globl	_Z6kernelI18blocked_to_stripedaLj256ELj8ELj100EEvPKT0_PKjPS1_
	.p2align	8
	.type	_Z6kernelI18blocked_to_stripedaLj256ELj8ELj100EEvPKT0_PKjPS1_,@function
_Z6kernelI18blocked_to_stripedaLj256ELj8ELj100EEvPKT0_PKjPS1_: ; @_Z6kernelI18blocked_to_stripedaLj256ELj8ELj100EEvPKT0_PKjPS1_
; %bb.0:
	s_load_b64 s[4:5], s[0:1], 0x0
	s_lshl_b32 s2, s15, 11
	v_lshlrev_b32_e32 v11, 3, v0
	v_or_b32_e32 v3, 0x100, v0
	v_or_b32_e32 v4, 0x200, v0
	v_lshrrev_b32_e32 v5, 5, v0
	v_lshrrev_b32_e32 v6, 2, v0
	v_or_b32_e32 v9, 0x600, v0
	v_lshrrev_b32_e32 v3, 5, v3
	v_lshrrev_b32_e32 v4, 5, v4
	v_and_b32_e32 v5, 4, v5
	v_and_b32_e32 v12, 60, v6
	v_or_b32_e32 v6, 0x300, v0
	v_and_b32_e32 v7, 12, v3
	v_and_b32_e32 v8, 20, v4
	v_add_nc_u32_e32 v3, v5, v0
	v_or_b32_e32 v10, 0x700, v0
	v_lshrrev_b32_e32 v6, 5, v6
	v_add_nc_u32_e32 v4, v7, v0
	v_add_nc_u32_e32 v5, v8, v0
	s_waitcnt lgkmcnt(0)
	s_add_u32 s4, s4, s2
	s_addc_u32 s5, s5, 0
	v_or_b32_e32 v7, 0x400, v0
	global_load_b64 v[1:2], v11, s[4:5]
	v_or_b32_e32 v8, 0x500, v0
	v_lshrrev_b32_e32 v9, 5, v9
	v_lshrrev_b32_e32 v10, 5, v10
	;; [unrolled: 1-line block ×3, first 2 shown]
	v_and_b32_e32 v6, 28, v6
	v_lshrrev_b32_e32 v8, 5, v8
	v_and_b32_e32 v9, 52, v9
	v_and_b32_e32 v10, 60, v10
	;; [unrolled: 1-line block ×3, first 2 shown]
	v_add_nc_u32_e32 v6, v6, v0
	v_and_b32_e32 v8, 44, v8
	v_add_nc_u32_e32 v9, v9, v0
	v_add_nc_u32_e32 v10, v10, v0
	;; [unrolled: 1-line block ×5, first 2 shown]
	s_movk_i32 s3, 0x64
	s_set_inst_prefetch_distance 0x1
	.p2align	6
.LBB11_1:                               ; =>This Inner Loop Header: Depth=1
	s_waitcnt vmcnt(0)
	ds_store_2addr_b32 v11, v1, v2 offset1:1
	s_waitcnt lgkmcnt(0)
	s_barrier
	buffer_gl0_inv
	ds_load_u8 v12, v4 offset:256
	ds_load_u8 v13, v6 offset:768
	;; [unrolled: 1-line block ×4, first 2 shown]
	ds_load_u8 v19, v3
	ds_load_u8 v18, v5 offset:512
	ds_load_u8 v17, v7 offset:1024
	;; [unrolled: 1-line block ×3, first 2 shown]
	s_add_i32 s3, s3, -1
	s_waitcnt lgkmcnt(0)
	s_cmp_lg_u32 s3, 0
	s_barrier
	buffer_gl0_inv
	v_lshlrev_b16 v1, 8, v12
	v_lshlrev_b16 v2, 8, v13
	;; [unrolled: 1-line block ×4, first 2 shown]
	s_delay_alu instid0(VALU_DEP_4) | instskip(NEXT) | instid1(VALU_DEP_4)
	v_or_b32_e32 v1, v19, v1
	v_or_b32_e32 v2, v18, v2
	s_delay_alu instid0(VALU_DEP_4) | instskip(NEXT) | instid1(VALU_DEP_4)
	v_or_b32_e32 v20, v17, v20
	v_or_b32_e32 v21, v16, v21
	s_delay_alu instid0(VALU_DEP_4) | instskip(NEXT) | instid1(VALU_DEP_4)
	v_and_b32_e32 v1, 0xffff, v1
	v_lshlrev_b32_e32 v2, 16, v2
	s_delay_alu instid0(VALU_DEP_4) | instskip(NEXT) | instid1(VALU_DEP_4)
	v_and_b32_e32 v20, 0xffff, v20
	v_lshlrev_b32_e32 v21, 16, v21
	s_delay_alu instid0(VALU_DEP_3) | instskip(NEXT) | instid1(VALU_DEP_2)
	v_or_b32_e32 v1, v1, v2
	v_or_b32_e32 v2, v20, v21
	s_cbranch_scc1 .LBB11_1
; %bb.2:
	s_set_inst_prefetch_distance 0x2
	s_load_b64 s[0:1], s[0:1], 0x10
	s_waitcnt lgkmcnt(0)
	s_add_u32 s0, s0, s2
	s_addc_u32 s1, s1, 0
	s_clause 0x7
	global_store_b8 v0, v19, s[0:1]
	global_store_b8 v0, v12, s[0:1] offset:256
	global_store_b8 v0, v18, s[0:1] offset:512
	;; [unrolled: 1-line block ×7, first 2 shown]
	s_nop 0
	s_sendmsg sendmsg(MSG_DEALLOC_VGPRS)
	s_endpgm
	.section	.rodata,"a",@progbits
	.p2align	6, 0x0
	.amdhsa_kernel _Z6kernelI18blocked_to_stripedaLj256ELj8ELj100EEvPKT0_PKjPS1_
		.amdhsa_group_segment_fixed_size 2112
		.amdhsa_private_segment_fixed_size 0
		.amdhsa_kernarg_size 24
		.amdhsa_user_sgpr_count 15
		.amdhsa_user_sgpr_dispatch_ptr 0
		.amdhsa_user_sgpr_queue_ptr 0
		.amdhsa_user_sgpr_kernarg_segment_ptr 1
		.amdhsa_user_sgpr_dispatch_id 0
		.amdhsa_user_sgpr_private_segment_size 0
		.amdhsa_wavefront_size32 1
		.amdhsa_uses_dynamic_stack 0
		.amdhsa_enable_private_segment 0
		.amdhsa_system_sgpr_workgroup_id_x 1
		.amdhsa_system_sgpr_workgroup_id_y 0
		.amdhsa_system_sgpr_workgroup_id_z 0
		.amdhsa_system_sgpr_workgroup_info 0
		.amdhsa_system_vgpr_workitem_id 0
		.amdhsa_next_free_vgpr 22
		.amdhsa_next_free_sgpr 16
		.amdhsa_reserve_vcc 0
		.amdhsa_float_round_mode_32 0
		.amdhsa_float_round_mode_16_64 0
		.amdhsa_float_denorm_mode_32 3
		.amdhsa_float_denorm_mode_16_64 3
		.amdhsa_dx10_clamp 1
		.amdhsa_ieee_mode 1
		.amdhsa_fp16_overflow 0
		.amdhsa_workgroup_processor_mode 1
		.amdhsa_memory_ordered 1
		.amdhsa_forward_progress 0
		.amdhsa_shared_vgpr_count 0
		.amdhsa_exception_fp_ieee_invalid_op 0
		.amdhsa_exception_fp_denorm_src 0
		.amdhsa_exception_fp_ieee_div_zero 0
		.amdhsa_exception_fp_ieee_overflow 0
		.amdhsa_exception_fp_ieee_underflow 0
		.amdhsa_exception_fp_ieee_inexact 0
		.amdhsa_exception_int_div_zero 0
	.end_amdhsa_kernel
	.section	.text._Z6kernelI18blocked_to_stripedaLj256ELj8ELj100EEvPKT0_PKjPS1_,"axG",@progbits,_Z6kernelI18blocked_to_stripedaLj256ELj8ELj100EEvPKT0_PKjPS1_,comdat
.Lfunc_end11:
	.size	_Z6kernelI18blocked_to_stripedaLj256ELj8ELj100EEvPKT0_PKjPS1_, .Lfunc_end11-_Z6kernelI18blocked_to_stripedaLj256ELj8ELj100EEvPKT0_PKjPS1_
                                        ; -- End function
	.section	.AMDGPU.csdata,"",@progbits
; Kernel info:
; codeLenInByte = 532
; NumSgprs: 16
; NumVgprs: 22
; ScratchSize: 0
; MemoryBound: 0
; FloatMode: 240
; IeeeMode: 1
; LDSByteSize: 2112 bytes/workgroup (compile time only)
; SGPRBlocks: 1
; VGPRBlocks: 2
; NumSGPRsForWavesPerEU: 16
; NumVGPRsForWavesPerEU: 22
; Occupancy: 16
; WaveLimiterHint : 1
; COMPUTE_PGM_RSRC2:SCRATCH_EN: 0
; COMPUTE_PGM_RSRC2:USER_SGPR: 15
; COMPUTE_PGM_RSRC2:TRAP_HANDLER: 0
; COMPUTE_PGM_RSRC2:TGID_X_EN: 1
; COMPUTE_PGM_RSRC2:TGID_Y_EN: 0
; COMPUTE_PGM_RSRC2:TGID_Z_EN: 0
; COMPUTE_PGM_RSRC2:TIDIG_COMP_CNT: 0
	.section	.text._Z6kernelI18blocked_to_stripedxLj256ELj1ELj100EEvPKT0_PKjPS1_,"axG",@progbits,_Z6kernelI18blocked_to_stripedxLj256ELj1ELj100EEvPKT0_PKjPS1_,comdat
	.protected	_Z6kernelI18blocked_to_stripedxLj256ELj1ELj100EEvPKT0_PKjPS1_ ; -- Begin function _Z6kernelI18blocked_to_stripedxLj256ELj1ELj100EEvPKT0_PKjPS1_
	.globl	_Z6kernelI18blocked_to_stripedxLj256ELj1ELj100EEvPKT0_PKjPS1_
	.p2align	8
	.type	_Z6kernelI18blocked_to_stripedxLj256ELj1ELj100EEvPKT0_PKjPS1_,@function
_Z6kernelI18blocked_to_stripedxLj256ELj1ELj100EEvPKT0_PKjPS1_: ; @_Z6kernelI18blocked_to_stripedxLj256ELj1ELj100EEvPKT0_PKjPS1_
; %bb.0:
	s_load_b64 s[4:5], s[0:1], 0x0
	s_lshl_b32 s2, s15, 8
	s_mov_b32 s3, 0
	v_lshlrev_b32_e32 v3, 3, v0
	s_lshl_b64 s[2:3], s[2:3], 3
	s_waitcnt lgkmcnt(0)
	s_add_u32 s4, s4, s2
	s_addc_u32 s5, s5, s3
	global_load_b64 v[1:2], v3, s[4:5]
	s_movk_i32 s4, 0x64
.LBB12_1:                               ; =>This Inner Loop Header: Depth=1
	s_waitcnt vmcnt(0)
	ds_store_b64 v3, v[1:2]
	s_waitcnt lgkmcnt(0)
	s_barrier
	buffer_gl0_inv
	ds_load_b64 v[1:2], v3
	s_add_i32 s4, s4, -1
	s_waitcnt lgkmcnt(0)
	s_cmp_lg_u32 s4, 0
	s_barrier
	buffer_gl0_inv
	s_cbranch_scc1 .LBB12_1
; %bb.2:
	s_load_b64 s[0:1], s[0:1], 0x10
	v_lshlrev_b32_e32 v0, 3, v0
	s_waitcnt lgkmcnt(0)
	s_add_u32 s0, s0, s2
	s_addc_u32 s1, s1, s3
	global_store_b64 v0, v[1:2], s[0:1]
	s_nop 0
	s_sendmsg sendmsg(MSG_DEALLOC_VGPRS)
	s_endpgm
	.section	.rodata,"a",@progbits
	.p2align	6, 0x0
	.amdhsa_kernel _Z6kernelI18blocked_to_stripedxLj256ELj1ELj100EEvPKT0_PKjPS1_
		.amdhsa_group_segment_fixed_size 2048
		.amdhsa_private_segment_fixed_size 0
		.amdhsa_kernarg_size 24
		.amdhsa_user_sgpr_count 15
		.amdhsa_user_sgpr_dispatch_ptr 0
		.amdhsa_user_sgpr_queue_ptr 0
		.amdhsa_user_sgpr_kernarg_segment_ptr 1
		.amdhsa_user_sgpr_dispatch_id 0
		.amdhsa_user_sgpr_private_segment_size 0
		.amdhsa_wavefront_size32 1
		.amdhsa_uses_dynamic_stack 0
		.amdhsa_enable_private_segment 0
		.amdhsa_system_sgpr_workgroup_id_x 1
		.amdhsa_system_sgpr_workgroup_id_y 0
		.amdhsa_system_sgpr_workgroup_id_z 0
		.amdhsa_system_sgpr_workgroup_info 0
		.amdhsa_system_vgpr_workitem_id 0
		.amdhsa_next_free_vgpr 4
		.amdhsa_next_free_sgpr 16
		.amdhsa_reserve_vcc 0
		.amdhsa_float_round_mode_32 0
		.amdhsa_float_round_mode_16_64 0
		.amdhsa_float_denorm_mode_32 3
		.amdhsa_float_denorm_mode_16_64 3
		.amdhsa_dx10_clamp 1
		.amdhsa_ieee_mode 1
		.amdhsa_fp16_overflow 0
		.amdhsa_workgroup_processor_mode 1
		.amdhsa_memory_ordered 1
		.amdhsa_forward_progress 0
		.amdhsa_shared_vgpr_count 0
		.amdhsa_exception_fp_ieee_invalid_op 0
		.amdhsa_exception_fp_denorm_src 0
		.amdhsa_exception_fp_ieee_div_zero 0
		.amdhsa_exception_fp_ieee_overflow 0
		.amdhsa_exception_fp_ieee_underflow 0
		.amdhsa_exception_fp_ieee_inexact 0
		.amdhsa_exception_int_div_zero 0
	.end_amdhsa_kernel
	.section	.text._Z6kernelI18blocked_to_stripedxLj256ELj1ELj100EEvPKT0_PKjPS1_,"axG",@progbits,_Z6kernelI18blocked_to_stripedxLj256ELj1ELj100EEvPKT0_PKjPS1_,comdat
.Lfunc_end12:
	.size	_Z6kernelI18blocked_to_stripedxLj256ELj1ELj100EEvPKT0_PKjPS1_, .Lfunc_end12-_Z6kernelI18blocked_to_stripedxLj256ELj1ELj100EEvPKT0_PKjPS1_
                                        ; -- End function
	.section	.AMDGPU.csdata,"",@progbits
; Kernel info:
; codeLenInByte = 156
; NumSgprs: 16
; NumVgprs: 4
; ScratchSize: 0
; MemoryBound: 0
; FloatMode: 240
; IeeeMode: 1
; LDSByteSize: 2048 bytes/workgroup (compile time only)
; SGPRBlocks: 1
; VGPRBlocks: 0
; NumSGPRsForWavesPerEU: 16
; NumVGPRsForWavesPerEU: 4
; Occupancy: 16
; WaveLimiterHint : 0
; COMPUTE_PGM_RSRC2:SCRATCH_EN: 0
; COMPUTE_PGM_RSRC2:USER_SGPR: 15
; COMPUTE_PGM_RSRC2:TRAP_HANDLER: 0
; COMPUTE_PGM_RSRC2:TGID_X_EN: 1
; COMPUTE_PGM_RSRC2:TGID_Y_EN: 0
; COMPUTE_PGM_RSRC2:TGID_Z_EN: 0
; COMPUTE_PGM_RSRC2:TIDIG_COMP_CNT: 0
	.section	.text._Z6kernelI18blocked_to_stripedxLj256ELj2ELj100EEvPKT0_PKjPS1_,"axG",@progbits,_Z6kernelI18blocked_to_stripedxLj256ELj2ELj100EEvPKT0_PKjPS1_,comdat
	.protected	_Z6kernelI18blocked_to_stripedxLj256ELj2ELj100EEvPKT0_PKjPS1_ ; -- Begin function _Z6kernelI18blocked_to_stripedxLj256ELj2ELj100EEvPKT0_PKjPS1_
	.globl	_Z6kernelI18blocked_to_stripedxLj256ELj2ELj100EEvPKT0_PKjPS1_
	.p2align	8
	.type	_Z6kernelI18blocked_to_stripedxLj256ELj2ELj100EEvPKT0_PKjPS1_,@function
_Z6kernelI18blocked_to_stripedxLj256ELj2ELj100EEvPKT0_PKjPS1_: ; @_Z6kernelI18blocked_to_stripedxLj256ELj2ELj100EEvPKT0_PKjPS1_
; %bb.0:
	s_load_b64 s[4:5], s[0:1], 0x0
	s_lshl_b32 s2, s15, 9
	s_mov_b32 s3, 0
	v_lshlrev_b32_e32 v5, 4, v0
	s_lshl_b64 s[2:3], s[2:3], 3
	v_lshrrev_b32_e32 v6, 1, v0
	v_or_b32_e32 v7, 0x100, v0
	v_lshrrev_b32_e32 v8, 5, v0
	s_delay_alu instid0(VALU_DEP_3) | instskip(NEXT) | instid1(VALU_DEP_3)
	v_and_b32_e32 v6, 0x78, v6
	v_lshrrev_b32_e32 v7, 5, v7
	s_delay_alu instid0(VALU_DEP_1)
	v_add_lshl_u32 v7, v7, v0, 3
	s_waitcnt lgkmcnt(0)
	s_add_u32 s4, s4, s2
	s_addc_u32 s5, s5, s3
	global_load_b128 v[1:4], v5, s[4:5]
	v_add_nc_u32_e32 v5, v6, v5
	v_add_lshl_u32 v6, v8, v0, 3
	s_movk_i32 s4, 0x64
.LBB13_1:                               ; =>This Inner Loop Header: Depth=1
	s_waitcnt vmcnt(0)
	ds_store_2addr_b64 v5, v[1:2], v[3:4] offset1:1
	s_waitcnt lgkmcnt(0)
	s_barrier
	buffer_gl0_inv
	ds_load_b64 v[1:2], v6
	ds_load_b64 v[3:4], v7 offset:2048
	s_add_i32 s4, s4, -1
	s_waitcnt lgkmcnt(0)
	s_cmp_lg_u32 s4, 0
	s_barrier
	buffer_gl0_inv
	s_cbranch_scc1 .LBB13_1
; %bb.2:
	s_load_b64 s[0:1], s[0:1], 0x10
	v_lshlrev_b32_e32 v0, 3, v0
	s_waitcnt lgkmcnt(0)
	s_add_u32 s0, s0, s2
	s_addc_u32 s1, s1, s3
	s_clause 0x1
	global_store_b64 v0, v[1:2], s[0:1]
	global_store_b64 v0, v[3:4], s[0:1] offset:2048
	s_nop 0
	s_sendmsg sendmsg(MSG_DEALLOC_VGPRS)
	s_endpgm
	.section	.rodata,"a",@progbits
	.p2align	6, 0x0
	.amdhsa_kernel _Z6kernelI18blocked_to_stripedxLj256ELj2ELj100EEvPKT0_PKjPS1_
		.amdhsa_group_segment_fixed_size 4224
		.amdhsa_private_segment_fixed_size 0
		.amdhsa_kernarg_size 24
		.amdhsa_user_sgpr_count 15
		.amdhsa_user_sgpr_dispatch_ptr 0
		.amdhsa_user_sgpr_queue_ptr 0
		.amdhsa_user_sgpr_kernarg_segment_ptr 1
		.amdhsa_user_sgpr_dispatch_id 0
		.amdhsa_user_sgpr_private_segment_size 0
		.amdhsa_wavefront_size32 1
		.amdhsa_uses_dynamic_stack 0
		.amdhsa_enable_private_segment 0
		.amdhsa_system_sgpr_workgroup_id_x 1
		.amdhsa_system_sgpr_workgroup_id_y 0
		.amdhsa_system_sgpr_workgroup_id_z 0
		.amdhsa_system_sgpr_workgroup_info 0
		.amdhsa_system_vgpr_workitem_id 0
		.amdhsa_next_free_vgpr 9
		.amdhsa_next_free_sgpr 16
		.amdhsa_reserve_vcc 0
		.amdhsa_float_round_mode_32 0
		.amdhsa_float_round_mode_16_64 0
		.amdhsa_float_denorm_mode_32 3
		.amdhsa_float_denorm_mode_16_64 3
		.amdhsa_dx10_clamp 1
		.amdhsa_ieee_mode 1
		.amdhsa_fp16_overflow 0
		.amdhsa_workgroup_processor_mode 1
		.amdhsa_memory_ordered 1
		.amdhsa_forward_progress 0
		.amdhsa_shared_vgpr_count 0
		.amdhsa_exception_fp_ieee_invalid_op 0
		.amdhsa_exception_fp_denorm_src 0
		.amdhsa_exception_fp_ieee_div_zero 0
		.amdhsa_exception_fp_ieee_overflow 0
		.amdhsa_exception_fp_ieee_underflow 0
		.amdhsa_exception_fp_ieee_inexact 0
		.amdhsa_exception_int_div_zero 0
	.end_amdhsa_kernel
	.section	.text._Z6kernelI18blocked_to_stripedxLj256ELj2ELj100EEvPKT0_PKjPS1_,"axG",@progbits,_Z6kernelI18blocked_to_stripedxLj256ELj2ELj100EEvPKT0_PKjPS1_,comdat
.Lfunc_end13:
	.size	_Z6kernelI18blocked_to_stripedxLj256ELj2ELj100EEvPKT0_PKjPS1_, .Lfunc_end13-_Z6kernelI18blocked_to_stripedxLj256ELj2ELj100EEvPKT0_PKjPS1_
                                        ; -- End function
	.section	.AMDGPU.csdata,"",@progbits
; Kernel info:
; codeLenInByte = 232
; NumSgprs: 16
; NumVgprs: 9
; ScratchSize: 0
; MemoryBound: 0
; FloatMode: 240
; IeeeMode: 1
; LDSByteSize: 4224 bytes/workgroup (compile time only)
; SGPRBlocks: 1
; VGPRBlocks: 1
; NumSGPRsForWavesPerEU: 16
; NumVGPRsForWavesPerEU: 9
; Occupancy: 16
; WaveLimiterHint : 1
; COMPUTE_PGM_RSRC2:SCRATCH_EN: 0
; COMPUTE_PGM_RSRC2:USER_SGPR: 15
; COMPUTE_PGM_RSRC2:TRAP_HANDLER: 0
; COMPUTE_PGM_RSRC2:TGID_X_EN: 1
; COMPUTE_PGM_RSRC2:TGID_Y_EN: 0
; COMPUTE_PGM_RSRC2:TGID_Z_EN: 0
; COMPUTE_PGM_RSRC2:TIDIG_COMP_CNT: 0
	.section	.text._Z6kernelI18blocked_to_stripedxLj256ELj3ELj100EEvPKT0_PKjPS1_,"axG",@progbits,_Z6kernelI18blocked_to_stripedxLj256ELj3ELj100EEvPKT0_PKjPS1_,comdat
	.protected	_Z6kernelI18blocked_to_stripedxLj256ELj3ELj100EEvPKT0_PKjPS1_ ; -- Begin function _Z6kernelI18blocked_to_stripedxLj256ELj3ELj100EEvPKT0_PKjPS1_
	.globl	_Z6kernelI18blocked_to_stripedxLj256ELj3ELj100EEvPKT0_PKjPS1_
	.p2align	8
	.type	_Z6kernelI18blocked_to_stripedxLj256ELj3ELj100EEvPKT0_PKjPS1_,@function
_Z6kernelI18blocked_to_stripedxLj256ELj3ELj100EEvPKT0_PKjPS1_: ; @_Z6kernelI18blocked_to_stripedxLj256ELj3ELj100EEvPKT0_PKjPS1_
; %bb.0:
	s_load_b64 s[4:5], s[0:1], 0x0
	v_mul_u32_u24_e32 v1, 3, v0
	s_mov_b32 s3, 0
	s_mul_i32 s2, s15, 0x300
	v_lshlrev_b32_e32 v8, 4, v0
	s_lshl_b64 s[2:3], s[2:3], 3
	v_lshlrev_b32_e32 v7, 3, v1
	s_delay_alu instid0(VALU_DEP_2) | instskip(NEXT) | instid1(VALU_DEP_1)
	v_sub_nc_u32_e32 v8, 0, v8
	v_add_nc_u32_e32 v8, v7, v8
	s_waitcnt lgkmcnt(0)
	s_add_u32 s4, s4, s2
	s_addc_u32 s5, s5, s3
	s_clause 0x1
	global_load_b64 v[5:6], v7, s[4:5] offset:16
	global_load_b128 v[1:4], v7, s[4:5]
	s_movk_i32 s4, 0x64
.LBB14_1:                               ; =>This Inner Loop Header: Depth=1
	s_waitcnt vmcnt(0)
	ds_store_2addr_b64 v7, v[1:2], v[3:4] offset1:1
	ds_store_b64 v7, v[5:6] offset:16
	s_waitcnt lgkmcnt(0)
	s_barrier
	buffer_gl0_inv
	ds_load_2addr_stride64_b64 v[1:4], v8 offset1:4
	ds_load_b64 v[5:6], v8 offset:4096
	s_add_i32 s4, s4, -1
	s_waitcnt lgkmcnt(0)
	s_cmp_lg_u32 s4, 0
	s_barrier
	buffer_gl0_inv
	s_cbranch_scc1 .LBB14_1
; %bb.2:
	s_load_b64 s[0:1], s[0:1], 0x10
	v_lshlrev_b32_e32 v0, 3, v0
	s_waitcnt lgkmcnt(0)
	s_add_u32 s0, s0, s2
	s_addc_u32 s1, s1, s3
	s_delay_alu instid0(VALU_DEP_1) | instskip(NEXT) | instid1(VALU_DEP_1)
	v_add_co_u32 v7, s2, s0, v0
	v_add_co_ci_u32_e64 v8, null, s1, 0, s2
	s_delay_alu instid0(VALU_DEP_2) | instskip(NEXT) | instid1(VALU_DEP_2)
	v_add_co_u32 v7, vcc_lo, 0x1000, v7
	v_add_co_ci_u32_e32 v8, vcc_lo, 0, v8, vcc_lo
	s_clause 0x2
	global_store_b64 v0, v[1:2], s[0:1]
	global_store_b64 v0, v[3:4], s[0:1] offset:2048
	global_store_b64 v[7:8], v[5:6], off
	s_nop 0
	s_sendmsg sendmsg(MSG_DEALLOC_VGPRS)
	s_endpgm
	.section	.rodata,"a",@progbits
	.p2align	6, 0x0
	.amdhsa_kernel _Z6kernelI18blocked_to_stripedxLj256ELj3ELj100EEvPKT0_PKjPS1_
		.amdhsa_group_segment_fixed_size 6144
		.amdhsa_private_segment_fixed_size 0
		.amdhsa_kernarg_size 24
		.amdhsa_user_sgpr_count 15
		.amdhsa_user_sgpr_dispatch_ptr 0
		.amdhsa_user_sgpr_queue_ptr 0
		.amdhsa_user_sgpr_kernarg_segment_ptr 1
		.amdhsa_user_sgpr_dispatch_id 0
		.amdhsa_user_sgpr_private_segment_size 0
		.amdhsa_wavefront_size32 1
		.amdhsa_uses_dynamic_stack 0
		.amdhsa_enable_private_segment 0
		.amdhsa_system_sgpr_workgroup_id_x 1
		.amdhsa_system_sgpr_workgroup_id_y 0
		.amdhsa_system_sgpr_workgroup_id_z 0
		.amdhsa_system_sgpr_workgroup_info 0
		.amdhsa_system_vgpr_workitem_id 0
		.amdhsa_next_free_vgpr 9
		.amdhsa_next_free_sgpr 16
		.amdhsa_reserve_vcc 1
		.amdhsa_float_round_mode_32 0
		.amdhsa_float_round_mode_16_64 0
		.amdhsa_float_denorm_mode_32 3
		.amdhsa_float_denorm_mode_16_64 3
		.amdhsa_dx10_clamp 1
		.amdhsa_ieee_mode 1
		.amdhsa_fp16_overflow 0
		.amdhsa_workgroup_processor_mode 1
		.amdhsa_memory_ordered 1
		.amdhsa_forward_progress 0
		.amdhsa_shared_vgpr_count 0
		.amdhsa_exception_fp_ieee_invalid_op 0
		.amdhsa_exception_fp_denorm_src 0
		.amdhsa_exception_fp_ieee_div_zero 0
		.amdhsa_exception_fp_ieee_overflow 0
		.amdhsa_exception_fp_ieee_underflow 0
		.amdhsa_exception_fp_ieee_inexact 0
		.amdhsa_exception_int_div_zero 0
	.end_amdhsa_kernel
	.section	.text._Z6kernelI18blocked_to_stripedxLj256ELj3ELj100EEvPKT0_PKjPS1_,"axG",@progbits,_Z6kernelI18blocked_to_stripedxLj256ELj3ELj100EEvPKT0_PKjPS1_,comdat
.Lfunc_end14:
	.size	_Z6kernelI18blocked_to_stripedxLj256ELj3ELj100EEvPKT0_PKjPS1_, .Lfunc_end14-_Z6kernelI18blocked_to_stripedxLj256ELj3ELj100EEvPKT0_PKjPS1_
                                        ; -- End function
	.section	.AMDGPU.csdata,"",@progbits
; Kernel info:
; codeLenInByte = 268
; NumSgprs: 18
; NumVgprs: 9
; ScratchSize: 0
; MemoryBound: 0
; FloatMode: 240
; IeeeMode: 1
; LDSByteSize: 6144 bytes/workgroup (compile time only)
; SGPRBlocks: 2
; VGPRBlocks: 1
; NumSGPRsForWavesPerEU: 18
; NumVGPRsForWavesPerEU: 9
; Occupancy: 16
; WaveLimiterHint : 1
; COMPUTE_PGM_RSRC2:SCRATCH_EN: 0
; COMPUTE_PGM_RSRC2:USER_SGPR: 15
; COMPUTE_PGM_RSRC2:TRAP_HANDLER: 0
; COMPUTE_PGM_RSRC2:TGID_X_EN: 1
; COMPUTE_PGM_RSRC2:TGID_Y_EN: 0
; COMPUTE_PGM_RSRC2:TGID_Z_EN: 0
; COMPUTE_PGM_RSRC2:TIDIG_COMP_CNT: 0
	.section	.text._Z6kernelI18blocked_to_stripedxLj256ELj4ELj100EEvPKT0_PKjPS1_,"axG",@progbits,_Z6kernelI18blocked_to_stripedxLj256ELj4ELj100EEvPKT0_PKjPS1_,comdat
	.protected	_Z6kernelI18blocked_to_stripedxLj256ELj4ELj100EEvPKT0_PKjPS1_ ; -- Begin function _Z6kernelI18blocked_to_stripedxLj256ELj4ELj100EEvPKT0_PKjPS1_
	.globl	_Z6kernelI18blocked_to_stripedxLj256ELj4ELj100EEvPKT0_PKjPS1_
	.p2align	8
	.type	_Z6kernelI18blocked_to_stripedxLj256ELj4ELj100EEvPKT0_PKjPS1_,@function
_Z6kernelI18blocked_to_stripedxLj256ELj4ELj100EEvPKT0_PKjPS1_: ; @_Z6kernelI18blocked_to_stripedxLj256ELj4ELj100EEvPKT0_PKjPS1_
; %bb.0:
	s_load_b64 s[4:5], s[0:1], 0x0
	s_mov_b32 s3, 0
	s_lshl_b32 s2, s15, 10
	v_lshlrev_b32_e32 v9, 5, v0
	s_lshl_b64 s[2:3], s[2:3], 3
	v_or_b32_e32 v10, 0x100, v0
	v_or_b32_e32 v11, 0x200, v0
	;; [unrolled: 1-line block ×3, first 2 shown]
	v_and_b32_e32 v13, 0xf8, v0
	v_lshrrev_b32_e32 v14, 5, v0
	v_lshrrev_b32_e32 v15, 5, v10
	;; [unrolled: 1-line block ×4, first 2 shown]
	s_delay_alu instid0(VALU_DEP_4) | instskip(NEXT) | instid1(VALU_DEP_4)
	v_add_lshl_u32 v10, v14, v0, 3
	v_add_lshl_u32 v11, v15, v0, 3
	s_delay_alu instid0(VALU_DEP_4)
	v_add_lshl_u32 v12, v16, v0, 3
	s_waitcnt lgkmcnt(0)
	s_add_u32 s4, s4, s2
	s_addc_u32 s5, s5, s3
	s_clause 0x1
	global_load_b128 v[1:4], v9, s[4:5] offset:16
	global_load_b128 v[5:8], v9, s[4:5]
	v_add_nc_u32_e32 v9, v13, v9
	v_add_lshl_u32 v13, v17, v0, 3
	s_movk_i32 s4, 0x64
	.p2align	6
.LBB15_1:                               ; =>This Inner Loop Header: Depth=1
	s_waitcnt vmcnt(0)
	ds_store_2addr_b64 v9, v[5:6], v[7:8] offset1:1
	ds_store_2addr_b64 v9, v[1:2], v[3:4] offset0:2 offset1:3
	s_waitcnt lgkmcnt(0)
	s_barrier
	buffer_gl0_inv
	ds_load_b64 v[5:6], v10
	ds_load_b64 v[7:8], v11 offset:2048
	ds_load_b64 v[1:2], v12 offset:4096
	;; [unrolled: 1-line block ×3, first 2 shown]
	s_add_i32 s4, s4, -1
	s_waitcnt lgkmcnt(0)
	s_cmp_lg_u32 s4, 0
	s_barrier
	buffer_gl0_inv
	s_cbranch_scc1 .LBB15_1
; %bb.2:
	s_load_b64 s[0:1], s[0:1], 0x10
	v_lshlrev_b32_e32 v0, 3, v0
	s_waitcnt lgkmcnt(0)
	s_add_u32 s0, s0, s2
	s_addc_u32 s1, s1, s3
	s_delay_alu instid0(VALU_DEP_1) | instskip(NEXT) | instid1(VALU_DEP_1)
	v_add_co_u32 v9, s2, s0, v0
	v_add_co_ci_u32_e64 v10, null, s1, 0, s2
	s_delay_alu instid0(VALU_DEP_2) | instskip(NEXT) | instid1(VALU_DEP_2)
	v_add_co_u32 v9, vcc_lo, 0x1000, v9
	v_add_co_ci_u32_e32 v10, vcc_lo, 0, v10, vcc_lo
	s_clause 0x3
	global_store_b64 v0, v[5:6], s[0:1]
	global_store_b64 v0, v[7:8], s[0:1] offset:2048
	global_store_b64 v[9:10], v[1:2], off
	global_store_b64 v[9:10], v[3:4], off offset:2048
	s_nop 0
	s_sendmsg sendmsg(MSG_DEALLOC_VGPRS)
	s_endpgm
	.section	.rodata,"a",@progbits
	.p2align	6, 0x0
	.amdhsa_kernel _Z6kernelI18blocked_to_stripedxLj256ELj4ELj100EEvPKT0_PKjPS1_
		.amdhsa_group_segment_fixed_size 8448
		.amdhsa_private_segment_fixed_size 0
		.amdhsa_kernarg_size 24
		.amdhsa_user_sgpr_count 15
		.amdhsa_user_sgpr_dispatch_ptr 0
		.amdhsa_user_sgpr_queue_ptr 0
		.amdhsa_user_sgpr_kernarg_segment_ptr 1
		.amdhsa_user_sgpr_dispatch_id 0
		.amdhsa_user_sgpr_private_segment_size 0
		.amdhsa_wavefront_size32 1
		.amdhsa_uses_dynamic_stack 0
		.amdhsa_enable_private_segment 0
		.amdhsa_system_sgpr_workgroup_id_x 1
		.amdhsa_system_sgpr_workgroup_id_y 0
		.amdhsa_system_sgpr_workgroup_id_z 0
		.amdhsa_system_sgpr_workgroup_info 0
		.amdhsa_system_vgpr_workitem_id 0
		.amdhsa_next_free_vgpr 18
		.amdhsa_next_free_sgpr 16
		.amdhsa_reserve_vcc 1
		.amdhsa_float_round_mode_32 0
		.amdhsa_float_round_mode_16_64 0
		.amdhsa_float_denorm_mode_32 3
		.amdhsa_float_denorm_mode_16_64 3
		.amdhsa_dx10_clamp 1
		.amdhsa_ieee_mode 1
		.amdhsa_fp16_overflow 0
		.amdhsa_workgroup_processor_mode 1
		.amdhsa_memory_ordered 1
		.amdhsa_forward_progress 0
		.amdhsa_shared_vgpr_count 0
		.amdhsa_exception_fp_ieee_invalid_op 0
		.amdhsa_exception_fp_denorm_src 0
		.amdhsa_exception_fp_ieee_div_zero 0
		.amdhsa_exception_fp_ieee_overflow 0
		.amdhsa_exception_fp_ieee_underflow 0
		.amdhsa_exception_fp_ieee_inexact 0
		.amdhsa_exception_int_div_zero 0
	.end_amdhsa_kernel
	.section	.text._Z6kernelI18blocked_to_stripedxLj256ELj4ELj100EEvPKT0_PKjPS1_,"axG",@progbits,_Z6kernelI18blocked_to_stripedxLj256ELj4ELj100EEvPKT0_PKjPS1_,comdat
.Lfunc_end15:
	.size	_Z6kernelI18blocked_to_stripedxLj256ELj4ELj100EEvPKT0_PKjPS1_, .Lfunc_end15-_Z6kernelI18blocked_to_stripedxLj256ELj4ELj100EEvPKT0_PKjPS1_
                                        ; -- End function
	.section	.AMDGPU.csdata,"",@progbits
; Kernel info:
; codeLenInByte = 360
; NumSgprs: 18
; NumVgprs: 18
; ScratchSize: 0
; MemoryBound: 0
; FloatMode: 240
; IeeeMode: 1
; LDSByteSize: 8448 bytes/workgroup (compile time only)
; SGPRBlocks: 2
; VGPRBlocks: 2
; NumSGPRsForWavesPerEU: 18
; NumVGPRsForWavesPerEU: 18
; Occupancy: 16
; WaveLimiterHint : 1
; COMPUTE_PGM_RSRC2:SCRATCH_EN: 0
; COMPUTE_PGM_RSRC2:USER_SGPR: 15
; COMPUTE_PGM_RSRC2:TRAP_HANDLER: 0
; COMPUTE_PGM_RSRC2:TGID_X_EN: 1
; COMPUTE_PGM_RSRC2:TGID_Y_EN: 0
; COMPUTE_PGM_RSRC2:TGID_Z_EN: 0
; COMPUTE_PGM_RSRC2:TIDIG_COMP_CNT: 0
	.section	.text._Z6kernelI18blocked_to_stripedxLj256ELj7ELj100EEvPKT0_PKjPS1_,"axG",@progbits,_Z6kernelI18blocked_to_stripedxLj256ELj7ELj100EEvPKT0_PKjPS1_,comdat
	.protected	_Z6kernelI18blocked_to_stripedxLj256ELj7ELj100EEvPKT0_PKjPS1_ ; -- Begin function _Z6kernelI18blocked_to_stripedxLj256ELj7ELj100EEvPKT0_PKjPS1_
	.globl	_Z6kernelI18blocked_to_stripedxLj256ELj7ELj100EEvPKT0_PKjPS1_
	.p2align	8
	.type	_Z6kernelI18blocked_to_stripedxLj256ELj7ELj100EEvPKT0_PKjPS1_,@function
_Z6kernelI18blocked_to_stripedxLj256ELj7ELj100EEvPKT0_PKjPS1_: ; @_Z6kernelI18blocked_to_stripedxLj256ELj7ELj100EEvPKT0_PKjPS1_
; %bb.0:
	s_load_b64 s[4:5], s[0:1], 0x0
	v_mul_u32_u24_e32 v1, 7, v0
	s_mov_b32 s3, 0
	s_mul_i32 s2, s15, 0x700
	v_mul_i32_i24_e32 v16, 0xffffffd0, v0
	s_lshl_b64 s[2:3], s[2:3], 3
	v_lshlrev_b32_e32 v15, 3, v1
	s_delay_alu instid0(VALU_DEP_1)
	v_add_nc_u32_e32 v16, v15, v16
	s_waitcnt lgkmcnt(0)
	s_add_u32 s4, s4, s2
	s_addc_u32 s5, s5, s3
	s_clause 0x3
	global_load_b64 v[13:14], v15, s[4:5] offset:48
	global_load_b128 v[1:4], v15, s[4:5] offset:32
	global_load_b128 v[5:8], v15, s[4:5] offset:16
	global_load_b128 v[9:12], v15, s[4:5]
	s_movk_i32 s4, 0x64
	.p2align	6
.LBB16_1:                               ; =>This Inner Loop Header: Depth=1
	s_waitcnt vmcnt(0)
	ds_store_2addr_b64 v15, v[9:10], v[11:12] offset1:1
	ds_store_2addr_b64 v15, v[5:6], v[7:8] offset0:2 offset1:3
	ds_store_2addr_b64 v15, v[1:2], v[3:4] offset0:4 offset1:5
	ds_store_b64 v15, v[13:14] offset:48
	s_waitcnt lgkmcnt(0)
	s_barrier
	buffer_gl0_inv
	ds_load_2addr_stride64_b64 v[9:12], v16 offset1:4
	ds_load_2addr_stride64_b64 v[5:8], v16 offset0:8 offset1:12
	ds_load_2addr_stride64_b64 v[1:4], v16 offset0:16 offset1:20
	ds_load_b64 v[13:14], v16 offset:12288
	s_add_i32 s4, s4, -1
	s_waitcnt lgkmcnt(0)
	s_cmp_lg_u32 s4, 0
	s_barrier
	buffer_gl0_inv
	s_cbranch_scc1 .LBB16_1
; %bb.2:
	s_load_b64 s[0:1], s[0:1], 0x10
	v_lshlrev_b32_e32 v0, 3, v0
	s_waitcnt lgkmcnt(0)
	s_add_u32 s0, s0, s2
	s_addc_u32 s1, s1, s3
	s_delay_alu instid0(VALU_DEP_1) | instskip(NEXT) | instid1(VALU_DEP_1)
	v_add_co_u32 v21, s2, s0, v0
	v_add_co_ci_u32_e64 v22, null, s1, 0, s2
	s_delay_alu instid0(VALU_DEP_2) | instskip(NEXT) | instid1(VALU_DEP_2)
	v_add_co_u32 v15, vcc_lo, 0x1000, v21
	v_add_co_ci_u32_e32 v16, vcc_lo, 0, v22, vcc_lo
	v_add_co_u32 v17, vcc_lo, v21, 0x2000
	v_add_co_ci_u32_e32 v18, vcc_lo, 0, v22, vcc_lo
	;; [unrolled: 2-line block ×4, first 2 shown]
	s_clause 0x6
	global_store_b64 v[17:18], v[1:2], off
	global_store_b64 v0, v[9:10], s[0:1]
	global_store_b64 v0, v[11:12], s[0:1] offset:2048
	global_store_b64 v[15:16], v[7:8], off offset:2048
	global_store_b64 v[19:20], v[3:4], off offset:2048
	global_store_b64 v[17:18], v[5:6], off offset:-4096
	global_store_b64 v[21:22], v[13:14], off
	s_nop 0
	s_sendmsg sendmsg(MSG_DEALLOC_VGPRS)
	s_endpgm
	.section	.rodata,"a",@progbits
	.p2align	6, 0x0
	.amdhsa_kernel _Z6kernelI18blocked_to_stripedxLj256ELj7ELj100EEvPKT0_PKjPS1_
		.amdhsa_group_segment_fixed_size 14336
		.amdhsa_private_segment_fixed_size 0
		.amdhsa_kernarg_size 24
		.amdhsa_user_sgpr_count 15
		.amdhsa_user_sgpr_dispatch_ptr 0
		.amdhsa_user_sgpr_queue_ptr 0
		.amdhsa_user_sgpr_kernarg_segment_ptr 1
		.amdhsa_user_sgpr_dispatch_id 0
		.amdhsa_user_sgpr_private_segment_size 0
		.amdhsa_wavefront_size32 1
		.amdhsa_uses_dynamic_stack 0
		.amdhsa_enable_private_segment 0
		.amdhsa_system_sgpr_workgroup_id_x 1
		.amdhsa_system_sgpr_workgroup_id_y 0
		.amdhsa_system_sgpr_workgroup_id_z 0
		.amdhsa_system_sgpr_workgroup_info 0
		.amdhsa_system_vgpr_workitem_id 0
		.amdhsa_next_free_vgpr 23
		.amdhsa_next_free_sgpr 16
		.amdhsa_reserve_vcc 1
		.amdhsa_float_round_mode_32 0
		.amdhsa_float_round_mode_16_64 0
		.amdhsa_float_denorm_mode_32 3
		.amdhsa_float_denorm_mode_16_64 3
		.amdhsa_dx10_clamp 1
		.amdhsa_ieee_mode 1
		.amdhsa_fp16_overflow 0
		.amdhsa_workgroup_processor_mode 1
		.amdhsa_memory_ordered 1
		.amdhsa_forward_progress 0
		.amdhsa_shared_vgpr_count 0
		.amdhsa_exception_fp_ieee_invalid_op 0
		.amdhsa_exception_fp_denorm_src 0
		.amdhsa_exception_fp_ieee_div_zero 0
		.amdhsa_exception_fp_ieee_overflow 0
		.amdhsa_exception_fp_ieee_underflow 0
		.amdhsa_exception_fp_ieee_inexact 0
		.amdhsa_exception_int_div_zero 0
	.end_amdhsa_kernel
	.section	.text._Z6kernelI18blocked_to_stripedxLj256ELj7ELj100EEvPKT0_PKjPS1_,"axG",@progbits,_Z6kernelI18blocked_to_stripedxLj256ELj7ELj100EEvPKT0_PKjPS1_,comdat
.Lfunc_end16:
	.size	_Z6kernelI18blocked_to_stripedxLj256ELj7ELj100EEvPKT0_PKjPS1_, .Lfunc_end16-_Z6kernelI18blocked_to_stripedxLj256ELj7ELj100EEvPKT0_PKjPS1_
                                        ; -- End function
	.section	.AMDGPU.csdata,"",@progbits
; Kernel info:
; codeLenInByte = 396
; NumSgprs: 18
; NumVgprs: 23
; ScratchSize: 0
; MemoryBound: 1
; FloatMode: 240
; IeeeMode: 1
; LDSByteSize: 14336 bytes/workgroup (compile time only)
; SGPRBlocks: 2
; VGPRBlocks: 2
; NumSGPRsForWavesPerEU: 18
; NumVGPRsForWavesPerEU: 23
; Occupancy: 16
; WaveLimiterHint : 1
; COMPUTE_PGM_RSRC2:SCRATCH_EN: 0
; COMPUTE_PGM_RSRC2:USER_SGPR: 15
; COMPUTE_PGM_RSRC2:TRAP_HANDLER: 0
; COMPUTE_PGM_RSRC2:TGID_X_EN: 1
; COMPUTE_PGM_RSRC2:TGID_Y_EN: 0
; COMPUTE_PGM_RSRC2:TGID_Z_EN: 0
; COMPUTE_PGM_RSRC2:TIDIG_COMP_CNT: 0
	.section	.text._Z6kernelI18blocked_to_stripedxLj256ELj8ELj100EEvPKT0_PKjPS1_,"axG",@progbits,_Z6kernelI18blocked_to_stripedxLj256ELj8ELj100EEvPKT0_PKjPS1_,comdat
	.protected	_Z6kernelI18blocked_to_stripedxLj256ELj8ELj100EEvPKT0_PKjPS1_ ; -- Begin function _Z6kernelI18blocked_to_stripedxLj256ELj8ELj100EEvPKT0_PKjPS1_
	.globl	_Z6kernelI18blocked_to_stripedxLj256ELj8ELj100EEvPKT0_PKjPS1_
	.p2align	8
	.type	_Z6kernelI18blocked_to_stripedxLj256ELj8ELj100EEvPKT0_PKjPS1_,@function
_Z6kernelI18blocked_to_stripedxLj256ELj8ELj100EEvPKT0_PKjPS1_: ; @_Z6kernelI18blocked_to_stripedxLj256ELj8ELj100EEvPKT0_PKjPS1_
; %bb.0:
	s_load_b64 s[4:5], s[0:1], 0x0
	s_mov_b32 s3, 0
	s_lshl_b32 s2, s15, 11
	v_lshlrev_b32_e32 v17, 6, v0
	s_lshl_b64 s[2:3], s[2:3], 3
	v_lshlrev_b32_e32 v18, 1, v0
	v_lshrrev_b32_e32 v21, 5, v0
	v_or_b32_e32 v19, 0x100, v0
	v_or_b32_e32 v20, 0x200, v0
	;; [unrolled: 1-line block ×3, first 2 shown]
	v_and_b32_e32 v18, 0x1f8, v18
	v_or_b32_e32 v23, 0x500, v0
	v_or_b32_e32 v24, 0x600, v0
	;; [unrolled: 1-line block ×3, first 2 shown]
	v_lshrrev_b32_e32 v19, 5, v19
	v_lshrrev_b32_e32 v20, 5, v20
	;; [unrolled: 1-line block ×6, first 2 shown]
	s_waitcnt lgkmcnt(0)
	s_add_u32 s4, s4, s2
	s_addc_u32 s5, s5, s3
	v_add_lshl_u32 v19, v19, v0, 3
	s_clause 0x3
	global_load_b128 v[1:4], v17, s[4:5] offset:48
	global_load_b128 v[5:8], v17, s[4:5] offset:32
	;; [unrolled: 1-line block ×3, first 2 shown]
	global_load_b128 v[13:16], v17, s[4:5]
	v_add_nc_u32_e32 v17, v18, v17
	v_add_lshl_u32 v18, v21, v0, 3
	v_or_b32_e32 v21, 0x300, v0
	v_add_lshl_u32 v20, v20, v0, 3
	v_add_lshl_u32 v22, v22, v0, 3
	;; [unrolled: 1-line block ×4, first 2 shown]
	v_lshrrev_b32_e32 v21, 5, v21
	v_add_lshl_u32 v25, v25, v0, 3
	s_movk_i32 s4, 0x64
	s_delay_alu instid0(VALU_DEP_2)
	v_add_lshl_u32 v21, v21, v0, 3
	.p2align	6
.LBB17_1:                               ; =>This Inner Loop Header: Depth=1
	s_waitcnt vmcnt(0)
	ds_store_2addr_b64 v17, v[13:14], v[15:16] offset1:1
	ds_store_2addr_b64 v17, v[9:10], v[11:12] offset0:2 offset1:3
	ds_store_2addr_b64 v17, v[5:6], v[7:8] offset0:4 offset1:5
	ds_store_2addr_b64 v17, v[1:2], v[3:4] offset0:6 offset1:7
	s_waitcnt lgkmcnt(0)
	s_barrier
	buffer_gl0_inv
	ds_load_b64 v[13:14], v18
	ds_load_b64 v[15:16], v19 offset:2048
	ds_load_b64 v[9:10], v20 offset:4096
	;; [unrolled: 1-line block ×7, first 2 shown]
	s_add_i32 s4, s4, -1
	s_waitcnt lgkmcnt(0)
	s_cmp_lg_u32 s4, 0
	s_barrier
	buffer_gl0_inv
	s_cbranch_scc1 .LBB17_1
; %bb.2:
	s_load_b64 s[0:1], s[0:1], 0x10
	v_lshlrev_b32_e32 v0, 3, v0
	s_waitcnt lgkmcnt(0)
	s_add_u32 s0, s0, s2
	s_addc_u32 s1, s1, s3
	s_delay_alu instid0(VALU_DEP_1) | instskip(NEXT) | instid1(VALU_DEP_1)
	v_add_co_u32 v23, s2, s0, v0
	v_add_co_ci_u32_e64 v24, null, s1, 0, s2
	s_delay_alu instid0(VALU_DEP_2) | instskip(NEXT) | instid1(VALU_DEP_2)
	v_add_co_u32 v17, vcc_lo, 0x1000, v23
	v_add_co_ci_u32_e32 v18, vcc_lo, 0, v24, vcc_lo
	v_add_co_u32 v19, vcc_lo, v23, 0x2000
	v_add_co_ci_u32_e32 v20, vcc_lo, 0, v24, vcc_lo
	;; [unrolled: 2-line block ×4, first 2 shown]
	s_clause 0x7
	global_store_b64 v[19:20], v[5:6], off
	global_store_b64 v0, v[13:14], s[0:1]
	global_store_b64 v0, v[15:16], s[0:1] offset:2048
	global_store_b64 v[17:18], v[11:12], off offset:2048
	global_store_b64 v[21:22], v[7:8], off offset:2048
	global_store_b64 v[23:24], v[1:2], off
	global_store_b64 v[19:20], v[9:10], off offset:-4096
	global_store_b64 v[23:24], v[3:4], off offset:2048
	s_nop 0
	s_sendmsg sendmsg(MSG_DEALLOC_VGPRS)
	s_endpgm
	.section	.rodata,"a",@progbits
	.p2align	6, 0x0
	.amdhsa_kernel _Z6kernelI18blocked_to_stripedxLj256ELj8ELj100EEvPKT0_PKjPS1_
		.amdhsa_group_segment_fixed_size 16896
		.amdhsa_private_segment_fixed_size 0
		.amdhsa_kernarg_size 24
		.amdhsa_user_sgpr_count 15
		.amdhsa_user_sgpr_dispatch_ptr 0
		.amdhsa_user_sgpr_queue_ptr 0
		.amdhsa_user_sgpr_kernarg_segment_ptr 1
		.amdhsa_user_sgpr_dispatch_id 0
		.amdhsa_user_sgpr_private_segment_size 0
		.amdhsa_wavefront_size32 1
		.amdhsa_uses_dynamic_stack 0
		.amdhsa_enable_private_segment 0
		.amdhsa_system_sgpr_workgroup_id_x 1
		.amdhsa_system_sgpr_workgroup_id_y 0
		.amdhsa_system_sgpr_workgroup_id_z 0
		.amdhsa_system_sgpr_workgroup_info 0
		.amdhsa_system_vgpr_workitem_id 0
		.amdhsa_next_free_vgpr 26
		.amdhsa_next_free_sgpr 16
		.amdhsa_reserve_vcc 1
		.amdhsa_float_round_mode_32 0
		.amdhsa_float_round_mode_16_64 0
		.amdhsa_float_denorm_mode_32 3
		.amdhsa_float_denorm_mode_16_64 3
		.amdhsa_dx10_clamp 1
		.amdhsa_ieee_mode 1
		.amdhsa_fp16_overflow 0
		.amdhsa_workgroup_processor_mode 1
		.amdhsa_memory_ordered 1
		.amdhsa_forward_progress 0
		.amdhsa_shared_vgpr_count 0
		.amdhsa_exception_fp_ieee_invalid_op 0
		.amdhsa_exception_fp_denorm_src 0
		.amdhsa_exception_fp_ieee_div_zero 0
		.amdhsa_exception_fp_ieee_overflow 0
		.amdhsa_exception_fp_ieee_underflow 0
		.amdhsa_exception_fp_ieee_inexact 0
		.amdhsa_exception_int_div_zero 0
	.end_amdhsa_kernel
	.section	.text._Z6kernelI18blocked_to_stripedxLj256ELj8ELj100EEvPKT0_PKjPS1_,"axG",@progbits,_Z6kernelI18blocked_to_stripedxLj256ELj8ELj100EEvPKT0_PKjPS1_,comdat
.Lfunc_end17:
	.size	_Z6kernelI18blocked_to_stripedxLj256ELj8ELj100EEvPKT0_PKjPS1_, .Lfunc_end17-_Z6kernelI18blocked_to_stripedxLj256ELj8ELj100EEvPKT0_PKjPS1_
                                        ; -- End function
	.section	.AMDGPU.csdata,"",@progbits
; Kernel info:
; codeLenInByte = 584
; NumSgprs: 18
; NumVgprs: 26
; ScratchSize: 0
; MemoryBound: 0
; FloatMode: 240
; IeeeMode: 1
; LDSByteSize: 16896 bytes/workgroup (compile time only)
; SGPRBlocks: 2
; VGPRBlocks: 3
; NumSGPRsForWavesPerEU: 18
; NumVGPRsForWavesPerEU: 26
; Occupancy: 14
; WaveLimiterHint : 1
; COMPUTE_PGM_RSRC2:SCRATCH_EN: 0
; COMPUTE_PGM_RSRC2:USER_SGPR: 15
; COMPUTE_PGM_RSRC2:TRAP_HANDLER: 0
; COMPUTE_PGM_RSRC2:TGID_X_EN: 1
; COMPUTE_PGM_RSRC2:TGID_Y_EN: 0
; COMPUTE_PGM_RSRC2:TGID_Z_EN: 0
; COMPUTE_PGM_RSRC2:TIDIG_COMP_CNT: 0
	.section	.text._Z6kernelI18blocked_to_stripedN15benchmark_utils11custom_typeIffEELj256ELj1ELj100EEvPKT0_PKjPS4_,"axG",@progbits,_Z6kernelI18blocked_to_stripedN15benchmark_utils11custom_typeIffEELj256ELj1ELj100EEvPKT0_PKjPS4_,comdat
	.protected	_Z6kernelI18blocked_to_stripedN15benchmark_utils11custom_typeIffEELj256ELj1ELj100EEvPKT0_PKjPS4_ ; -- Begin function _Z6kernelI18blocked_to_stripedN15benchmark_utils11custom_typeIffEELj256ELj1ELj100EEvPKT0_PKjPS4_
	.globl	_Z6kernelI18blocked_to_stripedN15benchmark_utils11custom_typeIffEELj256ELj1ELj100EEvPKT0_PKjPS4_
	.p2align	8
	.type	_Z6kernelI18blocked_to_stripedN15benchmark_utils11custom_typeIffEELj256ELj1ELj100EEvPKT0_PKjPS4_,@function
_Z6kernelI18blocked_to_stripedN15benchmark_utils11custom_typeIffEELj256ELj1ELj100EEvPKT0_PKjPS4_: ; @_Z6kernelI18blocked_to_stripedN15benchmark_utils11custom_typeIffEELj256ELj1ELj100EEvPKT0_PKjPS4_
; %bb.0:
	s_load_b64 s[4:5], s[0:1], 0x0
	s_lshl_b32 s2, s15, 8
	s_mov_b32 s3, 0
	v_lshlrev_b32_e32 v3, 3, v0
	s_lshl_b64 s[2:3], s[2:3], 3
	s_waitcnt lgkmcnt(0)
	s_add_u32 s4, s4, s2
	s_addc_u32 s5, s5, s3
	global_load_b64 v[1:2], v3, s[4:5]
	s_movk_i32 s4, 0x64
.LBB18_1:                               ; =>This Inner Loop Header: Depth=1
	s_waitcnt vmcnt(0)
	ds_store_b64 v3, v[1:2]
	s_waitcnt lgkmcnt(0)
	s_barrier
	buffer_gl0_inv
	ds_load_b64 v[1:2], v3
	s_add_i32 s4, s4, -1
	s_waitcnt lgkmcnt(0)
	s_cmp_lg_u32 s4, 0
	s_barrier
	buffer_gl0_inv
	s_cbranch_scc1 .LBB18_1
; %bb.2:
	s_load_b64 s[0:1], s[0:1], 0x10
	v_lshlrev_b32_e32 v0, 3, v0
	s_waitcnt lgkmcnt(0)
	s_add_u32 s0, s0, s2
	s_addc_u32 s1, s1, s3
	global_store_b64 v0, v[1:2], s[0:1]
	s_nop 0
	s_sendmsg sendmsg(MSG_DEALLOC_VGPRS)
	s_endpgm
	.section	.rodata,"a",@progbits
	.p2align	6, 0x0
	.amdhsa_kernel _Z6kernelI18blocked_to_stripedN15benchmark_utils11custom_typeIffEELj256ELj1ELj100EEvPKT0_PKjPS4_
		.amdhsa_group_segment_fixed_size 2048
		.amdhsa_private_segment_fixed_size 0
		.amdhsa_kernarg_size 24
		.amdhsa_user_sgpr_count 15
		.amdhsa_user_sgpr_dispatch_ptr 0
		.amdhsa_user_sgpr_queue_ptr 0
		.amdhsa_user_sgpr_kernarg_segment_ptr 1
		.amdhsa_user_sgpr_dispatch_id 0
		.amdhsa_user_sgpr_private_segment_size 0
		.amdhsa_wavefront_size32 1
		.amdhsa_uses_dynamic_stack 0
		.amdhsa_enable_private_segment 0
		.amdhsa_system_sgpr_workgroup_id_x 1
		.amdhsa_system_sgpr_workgroup_id_y 0
		.amdhsa_system_sgpr_workgroup_id_z 0
		.amdhsa_system_sgpr_workgroup_info 0
		.amdhsa_system_vgpr_workitem_id 0
		.amdhsa_next_free_vgpr 4
		.amdhsa_next_free_sgpr 16
		.amdhsa_reserve_vcc 0
		.amdhsa_float_round_mode_32 0
		.amdhsa_float_round_mode_16_64 0
		.amdhsa_float_denorm_mode_32 3
		.amdhsa_float_denorm_mode_16_64 3
		.amdhsa_dx10_clamp 1
		.amdhsa_ieee_mode 1
		.amdhsa_fp16_overflow 0
		.amdhsa_workgroup_processor_mode 1
		.amdhsa_memory_ordered 1
		.amdhsa_forward_progress 0
		.amdhsa_shared_vgpr_count 0
		.amdhsa_exception_fp_ieee_invalid_op 0
		.amdhsa_exception_fp_denorm_src 0
		.amdhsa_exception_fp_ieee_div_zero 0
		.amdhsa_exception_fp_ieee_overflow 0
		.amdhsa_exception_fp_ieee_underflow 0
		.amdhsa_exception_fp_ieee_inexact 0
		.amdhsa_exception_int_div_zero 0
	.end_amdhsa_kernel
	.section	.text._Z6kernelI18blocked_to_stripedN15benchmark_utils11custom_typeIffEELj256ELj1ELj100EEvPKT0_PKjPS4_,"axG",@progbits,_Z6kernelI18blocked_to_stripedN15benchmark_utils11custom_typeIffEELj256ELj1ELj100EEvPKT0_PKjPS4_,comdat
.Lfunc_end18:
	.size	_Z6kernelI18blocked_to_stripedN15benchmark_utils11custom_typeIffEELj256ELj1ELj100EEvPKT0_PKjPS4_, .Lfunc_end18-_Z6kernelI18blocked_to_stripedN15benchmark_utils11custom_typeIffEELj256ELj1ELj100EEvPKT0_PKjPS4_
                                        ; -- End function
	.section	.AMDGPU.csdata,"",@progbits
; Kernel info:
; codeLenInByte = 156
; NumSgprs: 16
; NumVgprs: 4
; ScratchSize: 0
; MemoryBound: 0
; FloatMode: 240
; IeeeMode: 1
; LDSByteSize: 2048 bytes/workgroup (compile time only)
; SGPRBlocks: 1
; VGPRBlocks: 0
; NumSGPRsForWavesPerEU: 16
; NumVGPRsForWavesPerEU: 4
; Occupancy: 16
; WaveLimiterHint : 0
; COMPUTE_PGM_RSRC2:SCRATCH_EN: 0
; COMPUTE_PGM_RSRC2:USER_SGPR: 15
; COMPUTE_PGM_RSRC2:TRAP_HANDLER: 0
; COMPUTE_PGM_RSRC2:TGID_X_EN: 1
; COMPUTE_PGM_RSRC2:TGID_Y_EN: 0
; COMPUTE_PGM_RSRC2:TGID_Z_EN: 0
; COMPUTE_PGM_RSRC2:TIDIG_COMP_CNT: 0
	.section	.text._Z6kernelI18blocked_to_stripedN15benchmark_utils11custom_typeIffEELj256ELj2ELj100EEvPKT0_PKjPS4_,"axG",@progbits,_Z6kernelI18blocked_to_stripedN15benchmark_utils11custom_typeIffEELj256ELj2ELj100EEvPKT0_PKjPS4_,comdat
	.protected	_Z6kernelI18blocked_to_stripedN15benchmark_utils11custom_typeIffEELj256ELj2ELj100EEvPKT0_PKjPS4_ ; -- Begin function _Z6kernelI18blocked_to_stripedN15benchmark_utils11custom_typeIffEELj256ELj2ELj100EEvPKT0_PKjPS4_
	.globl	_Z6kernelI18blocked_to_stripedN15benchmark_utils11custom_typeIffEELj256ELj2ELj100EEvPKT0_PKjPS4_
	.p2align	8
	.type	_Z6kernelI18blocked_to_stripedN15benchmark_utils11custom_typeIffEELj256ELj2ELj100EEvPKT0_PKjPS4_,@function
_Z6kernelI18blocked_to_stripedN15benchmark_utils11custom_typeIffEELj256ELj2ELj100EEvPKT0_PKjPS4_: ; @_Z6kernelI18blocked_to_stripedN15benchmark_utils11custom_typeIffEELj256ELj2ELj100EEvPKT0_PKjPS4_
; %bb.0:
	s_load_b64 s[4:5], s[0:1], 0x0
	s_lshl_b32 s2, s15, 9
	s_mov_b32 s3, 0
	v_lshlrev_b32_e32 v5, 4, v0
	s_lshl_b64 s[2:3], s[2:3], 3
	v_lshrrev_b32_e32 v6, 1, v0
	v_or_b32_e32 v7, 0x100, v0
	v_lshrrev_b32_e32 v8, 5, v0
	s_delay_alu instid0(VALU_DEP_3) | instskip(NEXT) | instid1(VALU_DEP_3)
	v_and_b32_e32 v6, 0x78, v6
	v_lshrrev_b32_e32 v7, 5, v7
	s_delay_alu instid0(VALU_DEP_1)
	v_add_lshl_u32 v7, v7, v0, 3
	s_waitcnt lgkmcnt(0)
	s_add_u32 s4, s4, s2
	s_addc_u32 s5, s5, s3
	global_load_b128 v[1:4], v5, s[4:5]
	v_add_nc_u32_e32 v5, v6, v5
	v_add_lshl_u32 v6, v8, v0, 3
	s_movk_i32 s4, 0x64
.LBB19_1:                               ; =>This Inner Loop Header: Depth=1
	s_waitcnt vmcnt(0)
	ds_store_2addr_b64 v5, v[1:2], v[3:4] offset1:1
	s_waitcnt lgkmcnt(0)
	s_barrier
	buffer_gl0_inv
	ds_load_b64 v[1:2], v6
	ds_load_b64 v[3:4], v7 offset:2048
	s_add_i32 s4, s4, -1
	s_waitcnt lgkmcnt(0)
	s_cmp_lg_u32 s4, 0
	s_barrier
	buffer_gl0_inv
	s_cbranch_scc1 .LBB19_1
; %bb.2:
	s_load_b64 s[0:1], s[0:1], 0x10
	v_lshlrev_b32_e32 v0, 3, v0
	s_waitcnt lgkmcnt(0)
	s_add_u32 s0, s0, s2
	s_addc_u32 s1, s1, s3
	s_clause 0x1
	global_store_b64 v0, v[1:2], s[0:1]
	global_store_b64 v0, v[3:4], s[0:1] offset:2048
	s_nop 0
	s_sendmsg sendmsg(MSG_DEALLOC_VGPRS)
	s_endpgm
	.section	.rodata,"a",@progbits
	.p2align	6, 0x0
	.amdhsa_kernel _Z6kernelI18blocked_to_stripedN15benchmark_utils11custom_typeIffEELj256ELj2ELj100EEvPKT0_PKjPS4_
		.amdhsa_group_segment_fixed_size 4224
		.amdhsa_private_segment_fixed_size 0
		.amdhsa_kernarg_size 24
		.amdhsa_user_sgpr_count 15
		.amdhsa_user_sgpr_dispatch_ptr 0
		.amdhsa_user_sgpr_queue_ptr 0
		.amdhsa_user_sgpr_kernarg_segment_ptr 1
		.amdhsa_user_sgpr_dispatch_id 0
		.amdhsa_user_sgpr_private_segment_size 0
		.amdhsa_wavefront_size32 1
		.amdhsa_uses_dynamic_stack 0
		.amdhsa_enable_private_segment 0
		.amdhsa_system_sgpr_workgroup_id_x 1
		.amdhsa_system_sgpr_workgroup_id_y 0
		.amdhsa_system_sgpr_workgroup_id_z 0
		.amdhsa_system_sgpr_workgroup_info 0
		.amdhsa_system_vgpr_workitem_id 0
		.amdhsa_next_free_vgpr 9
		.amdhsa_next_free_sgpr 16
		.amdhsa_reserve_vcc 0
		.amdhsa_float_round_mode_32 0
		.amdhsa_float_round_mode_16_64 0
		.amdhsa_float_denorm_mode_32 3
		.amdhsa_float_denorm_mode_16_64 3
		.amdhsa_dx10_clamp 1
		.amdhsa_ieee_mode 1
		.amdhsa_fp16_overflow 0
		.amdhsa_workgroup_processor_mode 1
		.amdhsa_memory_ordered 1
		.amdhsa_forward_progress 0
		.amdhsa_shared_vgpr_count 0
		.amdhsa_exception_fp_ieee_invalid_op 0
		.amdhsa_exception_fp_denorm_src 0
		.amdhsa_exception_fp_ieee_div_zero 0
		.amdhsa_exception_fp_ieee_overflow 0
		.amdhsa_exception_fp_ieee_underflow 0
		.amdhsa_exception_fp_ieee_inexact 0
		.amdhsa_exception_int_div_zero 0
	.end_amdhsa_kernel
	.section	.text._Z6kernelI18blocked_to_stripedN15benchmark_utils11custom_typeIffEELj256ELj2ELj100EEvPKT0_PKjPS4_,"axG",@progbits,_Z6kernelI18blocked_to_stripedN15benchmark_utils11custom_typeIffEELj256ELj2ELj100EEvPKT0_PKjPS4_,comdat
.Lfunc_end19:
	.size	_Z6kernelI18blocked_to_stripedN15benchmark_utils11custom_typeIffEELj256ELj2ELj100EEvPKT0_PKjPS4_, .Lfunc_end19-_Z6kernelI18blocked_to_stripedN15benchmark_utils11custom_typeIffEELj256ELj2ELj100EEvPKT0_PKjPS4_
                                        ; -- End function
	.section	.AMDGPU.csdata,"",@progbits
; Kernel info:
; codeLenInByte = 232
; NumSgprs: 16
; NumVgprs: 9
; ScratchSize: 0
; MemoryBound: 0
; FloatMode: 240
; IeeeMode: 1
; LDSByteSize: 4224 bytes/workgroup (compile time only)
; SGPRBlocks: 1
; VGPRBlocks: 1
; NumSGPRsForWavesPerEU: 16
; NumVGPRsForWavesPerEU: 9
; Occupancy: 16
; WaveLimiterHint : 1
; COMPUTE_PGM_RSRC2:SCRATCH_EN: 0
; COMPUTE_PGM_RSRC2:USER_SGPR: 15
; COMPUTE_PGM_RSRC2:TRAP_HANDLER: 0
; COMPUTE_PGM_RSRC2:TGID_X_EN: 1
; COMPUTE_PGM_RSRC2:TGID_Y_EN: 0
; COMPUTE_PGM_RSRC2:TGID_Z_EN: 0
; COMPUTE_PGM_RSRC2:TIDIG_COMP_CNT: 0
	.section	.text._Z6kernelI18blocked_to_stripedN15benchmark_utils11custom_typeIffEELj256ELj3ELj100EEvPKT0_PKjPS4_,"axG",@progbits,_Z6kernelI18blocked_to_stripedN15benchmark_utils11custom_typeIffEELj256ELj3ELj100EEvPKT0_PKjPS4_,comdat
	.protected	_Z6kernelI18blocked_to_stripedN15benchmark_utils11custom_typeIffEELj256ELj3ELj100EEvPKT0_PKjPS4_ ; -- Begin function _Z6kernelI18blocked_to_stripedN15benchmark_utils11custom_typeIffEELj256ELj3ELj100EEvPKT0_PKjPS4_
	.globl	_Z6kernelI18blocked_to_stripedN15benchmark_utils11custom_typeIffEELj256ELj3ELj100EEvPKT0_PKjPS4_
	.p2align	8
	.type	_Z6kernelI18blocked_to_stripedN15benchmark_utils11custom_typeIffEELj256ELj3ELj100EEvPKT0_PKjPS4_,@function
_Z6kernelI18blocked_to_stripedN15benchmark_utils11custom_typeIffEELj256ELj3ELj100EEvPKT0_PKjPS4_: ; @_Z6kernelI18blocked_to_stripedN15benchmark_utils11custom_typeIffEELj256ELj3ELj100EEvPKT0_PKjPS4_
; %bb.0:
	s_load_b64 s[4:5], s[0:1], 0x0
	v_mul_u32_u24_e32 v1, 3, v0
	s_mov_b32 s3, 0
	s_mul_i32 s2, s15, 0x300
	v_lshlrev_b32_e32 v8, 4, v0
	s_lshl_b64 s[2:3], s[2:3], 3
	v_lshlrev_b32_e32 v7, 3, v1
	s_delay_alu instid0(VALU_DEP_2) | instskip(NEXT) | instid1(VALU_DEP_1)
	v_sub_nc_u32_e32 v8, 0, v8
	v_add_nc_u32_e32 v8, v7, v8
	s_waitcnt lgkmcnt(0)
	s_add_u32 s4, s4, s2
	s_addc_u32 s5, s5, s3
	s_clause 0x1
	global_load_b128 v[1:4], v7, s[4:5]
	global_load_b64 v[5:6], v7, s[4:5] offset:16
	s_movk_i32 s4, 0x64
.LBB20_1:                               ; =>This Inner Loop Header: Depth=1
	s_waitcnt vmcnt(1)
	ds_store_2addr_b64 v7, v[1:2], v[3:4] offset1:1
	s_waitcnt vmcnt(0)
	ds_store_b64 v7, v[5:6] offset:16
	s_waitcnt lgkmcnt(0)
	s_barrier
	buffer_gl0_inv
	ds_load_2addr_stride64_b64 v[1:4], v8 offset1:4
	ds_load_b64 v[5:6], v8 offset:4096
	s_add_i32 s4, s4, -1
	s_waitcnt lgkmcnt(0)
	s_cmp_lg_u32 s4, 0
	s_barrier
	buffer_gl0_inv
	s_cbranch_scc1 .LBB20_1
; %bb.2:
	s_load_b64 s[0:1], s[0:1], 0x10
	v_lshlrev_b32_e32 v0, 3, v0
	s_waitcnt lgkmcnt(0)
	s_add_u32 s0, s0, s2
	s_addc_u32 s1, s1, s3
	s_delay_alu instid0(VALU_DEP_1) | instskip(NEXT) | instid1(VALU_DEP_1)
	v_add_co_u32 v7, s2, s0, v0
	v_add_co_ci_u32_e64 v8, null, s1, 0, s2
	s_delay_alu instid0(VALU_DEP_2) | instskip(NEXT) | instid1(VALU_DEP_2)
	v_add_co_u32 v7, vcc_lo, 0x1000, v7
	v_add_co_ci_u32_e32 v8, vcc_lo, 0, v8, vcc_lo
	s_clause 0x2
	global_store_b64 v0, v[1:2], s[0:1]
	global_store_b64 v0, v[3:4], s[0:1] offset:2048
	global_store_b64 v[7:8], v[5:6], off
	s_nop 0
	s_sendmsg sendmsg(MSG_DEALLOC_VGPRS)
	s_endpgm
	.section	.rodata,"a",@progbits
	.p2align	6, 0x0
	.amdhsa_kernel _Z6kernelI18blocked_to_stripedN15benchmark_utils11custom_typeIffEELj256ELj3ELj100EEvPKT0_PKjPS4_
		.amdhsa_group_segment_fixed_size 6144
		.amdhsa_private_segment_fixed_size 0
		.amdhsa_kernarg_size 24
		.amdhsa_user_sgpr_count 15
		.amdhsa_user_sgpr_dispatch_ptr 0
		.amdhsa_user_sgpr_queue_ptr 0
		.amdhsa_user_sgpr_kernarg_segment_ptr 1
		.amdhsa_user_sgpr_dispatch_id 0
		.amdhsa_user_sgpr_private_segment_size 0
		.amdhsa_wavefront_size32 1
		.amdhsa_uses_dynamic_stack 0
		.amdhsa_enable_private_segment 0
		.amdhsa_system_sgpr_workgroup_id_x 1
		.amdhsa_system_sgpr_workgroup_id_y 0
		.amdhsa_system_sgpr_workgroup_id_z 0
		.amdhsa_system_sgpr_workgroup_info 0
		.amdhsa_system_vgpr_workitem_id 0
		.amdhsa_next_free_vgpr 9
		.amdhsa_next_free_sgpr 16
		.amdhsa_reserve_vcc 1
		.amdhsa_float_round_mode_32 0
		.amdhsa_float_round_mode_16_64 0
		.amdhsa_float_denorm_mode_32 3
		.amdhsa_float_denorm_mode_16_64 3
		.amdhsa_dx10_clamp 1
		.amdhsa_ieee_mode 1
		.amdhsa_fp16_overflow 0
		.amdhsa_workgroup_processor_mode 1
		.amdhsa_memory_ordered 1
		.amdhsa_forward_progress 0
		.amdhsa_shared_vgpr_count 0
		.amdhsa_exception_fp_ieee_invalid_op 0
		.amdhsa_exception_fp_denorm_src 0
		.amdhsa_exception_fp_ieee_div_zero 0
		.amdhsa_exception_fp_ieee_overflow 0
		.amdhsa_exception_fp_ieee_underflow 0
		.amdhsa_exception_fp_ieee_inexact 0
		.amdhsa_exception_int_div_zero 0
	.end_amdhsa_kernel
	.section	.text._Z6kernelI18blocked_to_stripedN15benchmark_utils11custom_typeIffEELj256ELj3ELj100EEvPKT0_PKjPS4_,"axG",@progbits,_Z6kernelI18blocked_to_stripedN15benchmark_utils11custom_typeIffEELj256ELj3ELj100EEvPKT0_PKjPS4_,comdat
.Lfunc_end20:
	.size	_Z6kernelI18blocked_to_stripedN15benchmark_utils11custom_typeIffEELj256ELj3ELj100EEvPKT0_PKjPS4_, .Lfunc_end20-_Z6kernelI18blocked_to_stripedN15benchmark_utils11custom_typeIffEELj256ELj3ELj100EEvPKT0_PKjPS4_
                                        ; -- End function
	.section	.AMDGPU.csdata,"",@progbits
; Kernel info:
; codeLenInByte = 272
; NumSgprs: 18
; NumVgprs: 9
; ScratchSize: 0
; MemoryBound: 0
; FloatMode: 240
; IeeeMode: 1
; LDSByteSize: 6144 bytes/workgroup (compile time only)
; SGPRBlocks: 2
; VGPRBlocks: 1
; NumSGPRsForWavesPerEU: 18
; NumVGPRsForWavesPerEU: 9
; Occupancy: 16
; WaveLimiterHint : 1
; COMPUTE_PGM_RSRC2:SCRATCH_EN: 0
; COMPUTE_PGM_RSRC2:USER_SGPR: 15
; COMPUTE_PGM_RSRC2:TRAP_HANDLER: 0
; COMPUTE_PGM_RSRC2:TGID_X_EN: 1
; COMPUTE_PGM_RSRC2:TGID_Y_EN: 0
; COMPUTE_PGM_RSRC2:TGID_Z_EN: 0
; COMPUTE_PGM_RSRC2:TIDIG_COMP_CNT: 0
	.section	.text._Z6kernelI18blocked_to_stripedN15benchmark_utils11custom_typeIffEELj256ELj4ELj100EEvPKT0_PKjPS4_,"axG",@progbits,_Z6kernelI18blocked_to_stripedN15benchmark_utils11custom_typeIffEELj256ELj4ELj100EEvPKT0_PKjPS4_,comdat
	.protected	_Z6kernelI18blocked_to_stripedN15benchmark_utils11custom_typeIffEELj256ELj4ELj100EEvPKT0_PKjPS4_ ; -- Begin function _Z6kernelI18blocked_to_stripedN15benchmark_utils11custom_typeIffEELj256ELj4ELj100EEvPKT0_PKjPS4_
	.globl	_Z6kernelI18blocked_to_stripedN15benchmark_utils11custom_typeIffEELj256ELj4ELj100EEvPKT0_PKjPS4_
	.p2align	8
	.type	_Z6kernelI18blocked_to_stripedN15benchmark_utils11custom_typeIffEELj256ELj4ELj100EEvPKT0_PKjPS4_,@function
_Z6kernelI18blocked_to_stripedN15benchmark_utils11custom_typeIffEELj256ELj4ELj100EEvPKT0_PKjPS4_: ; @_Z6kernelI18blocked_to_stripedN15benchmark_utils11custom_typeIffEELj256ELj4ELj100EEvPKT0_PKjPS4_
; %bb.0:
	s_load_b64 s[4:5], s[0:1], 0x0
	s_mov_b32 s3, 0
	s_lshl_b32 s2, s15, 10
	v_lshlrev_b32_e32 v9, 5, v0
	s_lshl_b64 s[2:3], s[2:3], 3
	v_or_b32_e32 v10, 0x100, v0
	v_or_b32_e32 v11, 0x200, v0
	;; [unrolled: 1-line block ×3, first 2 shown]
	v_and_b32_e32 v13, 0xf8, v0
	v_lshrrev_b32_e32 v14, 5, v0
	v_lshrrev_b32_e32 v15, 5, v10
	;; [unrolled: 1-line block ×4, first 2 shown]
	s_delay_alu instid0(VALU_DEP_4) | instskip(NEXT) | instid1(VALU_DEP_4)
	v_add_lshl_u32 v10, v14, v0, 3
	v_add_lshl_u32 v11, v15, v0, 3
	s_delay_alu instid0(VALU_DEP_4)
	v_add_lshl_u32 v12, v16, v0, 3
	s_waitcnt lgkmcnt(0)
	s_add_u32 s4, s4, s2
	s_addc_u32 s5, s5, s3
	s_clause 0x1
	global_load_b128 v[5:8], v9, s[4:5]
	global_load_b128 v[1:4], v9, s[4:5] offset:16
	v_add_nc_u32_e32 v9, v13, v9
	v_add_lshl_u32 v13, v17, v0, 3
	s_movk_i32 s4, 0x64
	.p2align	6
.LBB21_1:                               ; =>This Inner Loop Header: Depth=1
	s_waitcnt vmcnt(1)
	ds_store_2addr_b64 v9, v[5:6], v[7:8] offset1:1
	s_waitcnt vmcnt(0)
	ds_store_2addr_b64 v9, v[1:2], v[3:4] offset0:2 offset1:3
	s_waitcnt lgkmcnt(0)
	s_barrier
	buffer_gl0_inv
	ds_load_b64 v[5:6], v10
	ds_load_b64 v[7:8], v11 offset:2048
	ds_load_b64 v[1:2], v12 offset:4096
	;; [unrolled: 1-line block ×3, first 2 shown]
	s_add_i32 s4, s4, -1
	s_waitcnt lgkmcnt(0)
	s_cmp_lg_u32 s4, 0
	s_barrier
	buffer_gl0_inv
	s_cbranch_scc1 .LBB21_1
; %bb.2:
	s_load_b64 s[0:1], s[0:1], 0x10
	v_lshlrev_b32_e32 v0, 3, v0
	s_waitcnt lgkmcnt(0)
	s_add_u32 s0, s0, s2
	s_addc_u32 s1, s1, s3
	s_delay_alu instid0(VALU_DEP_1) | instskip(NEXT) | instid1(VALU_DEP_1)
	v_add_co_u32 v9, s2, s0, v0
	v_add_co_ci_u32_e64 v10, null, s1, 0, s2
	s_delay_alu instid0(VALU_DEP_2) | instskip(NEXT) | instid1(VALU_DEP_2)
	v_add_co_u32 v9, vcc_lo, 0x1000, v9
	v_add_co_ci_u32_e32 v10, vcc_lo, 0, v10, vcc_lo
	s_clause 0x3
	global_store_b64 v0, v[5:6], s[0:1]
	global_store_b64 v0, v[7:8], s[0:1] offset:2048
	global_store_b64 v[9:10], v[1:2], off
	global_store_b64 v[9:10], v[3:4], off offset:2048
	s_nop 0
	s_sendmsg sendmsg(MSG_DEALLOC_VGPRS)
	s_endpgm
	.section	.rodata,"a",@progbits
	.p2align	6, 0x0
	.amdhsa_kernel _Z6kernelI18blocked_to_stripedN15benchmark_utils11custom_typeIffEELj256ELj4ELj100EEvPKT0_PKjPS4_
		.amdhsa_group_segment_fixed_size 8448
		.amdhsa_private_segment_fixed_size 0
		.amdhsa_kernarg_size 24
		.amdhsa_user_sgpr_count 15
		.amdhsa_user_sgpr_dispatch_ptr 0
		.amdhsa_user_sgpr_queue_ptr 0
		.amdhsa_user_sgpr_kernarg_segment_ptr 1
		.amdhsa_user_sgpr_dispatch_id 0
		.amdhsa_user_sgpr_private_segment_size 0
		.amdhsa_wavefront_size32 1
		.amdhsa_uses_dynamic_stack 0
		.amdhsa_enable_private_segment 0
		.amdhsa_system_sgpr_workgroup_id_x 1
		.amdhsa_system_sgpr_workgroup_id_y 0
		.amdhsa_system_sgpr_workgroup_id_z 0
		.amdhsa_system_sgpr_workgroup_info 0
		.amdhsa_system_vgpr_workitem_id 0
		.amdhsa_next_free_vgpr 18
		.amdhsa_next_free_sgpr 16
		.amdhsa_reserve_vcc 1
		.amdhsa_float_round_mode_32 0
		.amdhsa_float_round_mode_16_64 0
		.amdhsa_float_denorm_mode_32 3
		.amdhsa_float_denorm_mode_16_64 3
		.amdhsa_dx10_clamp 1
		.amdhsa_ieee_mode 1
		.amdhsa_fp16_overflow 0
		.amdhsa_workgroup_processor_mode 1
		.amdhsa_memory_ordered 1
		.amdhsa_forward_progress 0
		.amdhsa_shared_vgpr_count 0
		.amdhsa_exception_fp_ieee_invalid_op 0
		.amdhsa_exception_fp_denorm_src 0
		.amdhsa_exception_fp_ieee_div_zero 0
		.amdhsa_exception_fp_ieee_overflow 0
		.amdhsa_exception_fp_ieee_underflow 0
		.amdhsa_exception_fp_ieee_inexact 0
		.amdhsa_exception_int_div_zero 0
	.end_amdhsa_kernel
	.section	.text._Z6kernelI18blocked_to_stripedN15benchmark_utils11custom_typeIffEELj256ELj4ELj100EEvPKT0_PKjPS4_,"axG",@progbits,_Z6kernelI18blocked_to_stripedN15benchmark_utils11custom_typeIffEELj256ELj4ELj100EEvPKT0_PKjPS4_,comdat
.Lfunc_end21:
	.size	_Z6kernelI18blocked_to_stripedN15benchmark_utils11custom_typeIffEELj256ELj4ELj100EEvPKT0_PKjPS4_, .Lfunc_end21-_Z6kernelI18blocked_to_stripedN15benchmark_utils11custom_typeIffEELj256ELj4ELj100EEvPKT0_PKjPS4_
                                        ; -- End function
	.section	.AMDGPU.csdata,"",@progbits
; Kernel info:
; codeLenInByte = 364
; NumSgprs: 18
; NumVgprs: 18
; ScratchSize: 0
; MemoryBound: 0
; FloatMode: 240
; IeeeMode: 1
; LDSByteSize: 8448 bytes/workgroup (compile time only)
; SGPRBlocks: 2
; VGPRBlocks: 2
; NumSGPRsForWavesPerEU: 18
; NumVGPRsForWavesPerEU: 18
; Occupancy: 16
; WaveLimiterHint : 1
; COMPUTE_PGM_RSRC2:SCRATCH_EN: 0
; COMPUTE_PGM_RSRC2:USER_SGPR: 15
; COMPUTE_PGM_RSRC2:TRAP_HANDLER: 0
; COMPUTE_PGM_RSRC2:TGID_X_EN: 1
; COMPUTE_PGM_RSRC2:TGID_Y_EN: 0
; COMPUTE_PGM_RSRC2:TGID_Z_EN: 0
; COMPUTE_PGM_RSRC2:TIDIG_COMP_CNT: 0
	.section	.text._Z6kernelI18blocked_to_stripedN15benchmark_utils11custom_typeIffEELj256ELj7ELj100EEvPKT0_PKjPS4_,"axG",@progbits,_Z6kernelI18blocked_to_stripedN15benchmark_utils11custom_typeIffEELj256ELj7ELj100EEvPKT0_PKjPS4_,comdat
	.protected	_Z6kernelI18blocked_to_stripedN15benchmark_utils11custom_typeIffEELj256ELj7ELj100EEvPKT0_PKjPS4_ ; -- Begin function _Z6kernelI18blocked_to_stripedN15benchmark_utils11custom_typeIffEELj256ELj7ELj100EEvPKT0_PKjPS4_
	.globl	_Z6kernelI18blocked_to_stripedN15benchmark_utils11custom_typeIffEELj256ELj7ELj100EEvPKT0_PKjPS4_
	.p2align	8
	.type	_Z6kernelI18blocked_to_stripedN15benchmark_utils11custom_typeIffEELj256ELj7ELj100EEvPKT0_PKjPS4_,@function
_Z6kernelI18blocked_to_stripedN15benchmark_utils11custom_typeIffEELj256ELj7ELj100EEvPKT0_PKjPS4_: ; @_Z6kernelI18blocked_to_stripedN15benchmark_utils11custom_typeIffEELj256ELj7ELj100EEvPKT0_PKjPS4_
; %bb.0:
	s_load_b64 s[4:5], s[0:1], 0x0
	v_mul_u32_u24_e32 v1, 7, v0
	s_mov_b32 s3, 0
	s_mul_i32 s2, s15, 0x700
	v_mul_i32_i24_e32 v16, 0xffffffd0, v0
	s_lshl_b64 s[2:3], s[2:3], 3
	v_lshlrev_b32_e32 v15, 3, v1
	s_delay_alu instid0(VALU_DEP_1)
	v_add_nc_u32_e32 v16, v15, v16
	s_waitcnt lgkmcnt(0)
	s_add_u32 s4, s4, s2
	s_addc_u32 s5, s5, s3
	s_clause 0x3
	global_load_b128 v[1:4], v15, s[4:5]
	global_load_b128 v[5:8], v15, s[4:5] offset:16
	global_load_b128 v[9:12], v15, s[4:5] offset:32
	global_load_b64 v[13:14], v15, s[4:5] offset:48
	s_movk_i32 s4, 0x64
	.p2align	6
.LBB22_1:                               ; =>This Inner Loop Header: Depth=1
	s_waitcnt vmcnt(3)
	ds_store_2addr_b64 v15, v[1:2], v[3:4] offset1:1
	s_waitcnt vmcnt(2)
	ds_store_2addr_b64 v15, v[5:6], v[7:8] offset0:2 offset1:3
	s_waitcnt vmcnt(1)
	ds_store_2addr_b64 v15, v[9:10], v[11:12] offset0:4 offset1:5
	s_waitcnt vmcnt(0)
	ds_store_b64 v15, v[13:14] offset:48
	s_waitcnt lgkmcnt(0)
	s_barrier
	buffer_gl0_inv
	ds_load_2addr_stride64_b64 v[1:4], v16 offset1:4
	ds_load_2addr_stride64_b64 v[5:8], v16 offset0:8 offset1:12
	ds_load_2addr_stride64_b64 v[9:12], v16 offset0:16 offset1:20
	ds_load_b64 v[13:14], v16 offset:12288
	s_add_i32 s4, s4, -1
	s_waitcnt lgkmcnt(0)
	s_cmp_lg_u32 s4, 0
	s_barrier
	buffer_gl0_inv
	s_cbranch_scc1 .LBB22_1
; %bb.2:
	s_load_b64 s[0:1], s[0:1], 0x10
	v_lshlrev_b32_e32 v0, 3, v0
	s_waitcnt lgkmcnt(0)
	s_add_u32 s0, s0, s2
	s_addc_u32 s1, s1, s3
	s_delay_alu instid0(VALU_DEP_1) | instskip(NEXT) | instid1(VALU_DEP_1)
	v_add_co_u32 v21, s2, s0, v0
	v_add_co_ci_u32_e64 v22, null, s1, 0, s2
	s_delay_alu instid0(VALU_DEP_2) | instskip(NEXT) | instid1(VALU_DEP_2)
	v_add_co_u32 v15, vcc_lo, 0x1000, v21
	v_add_co_ci_u32_e32 v16, vcc_lo, 0, v22, vcc_lo
	v_add_co_u32 v17, vcc_lo, v21, 0x2000
	v_add_co_ci_u32_e32 v18, vcc_lo, 0, v22, vcc_lo
	;; [unrolled: 2-line block ×4, first 2 shown]
	s_clause 0x6
	global_store_b64 v[17:18], v[9:10], off
	global_store_b64 v0, v[1:2], s[0:1]
	global_store_b64 v0, v[3:4], s[0:1] offset:2048
	global_store_b64 v[15:16], v[7:8], off offset:2048
	global_store_b64 v[19:20], v[11:12], off offset:2048
	global_store_b64 v[17:18], v[5:6], off offset:-4096
	global_store_b64 v[21:22], v[13:14], off
	s_nop 0
	s_sendmsg sendmsg(MSG_DEALLOC_VGPRS)
	s_endpgm
	.section	.rodata,"a",@progbits
	.p2align	6, 0x0
	.amdhsa_kernel _Z6kernelI18blocked_to_stripedN15benchmark_utils11custom_typeIffEELj256ELj7ELj100EEvPKT0_PKjPS4_
		.amdhsa_group_segment_fixed_size 14336
		.amdhsa_private_segment_fixed_size 0
		.amdhsa_kernarg_size 24
		.amdhsa_user_sgpr_count 15
		.amdhsa_user_sgpr_dispatch_ptr 0
		.amdhsa_user_sgpr_queue_ptr 0
		.amdhsa_user_sgpr_kernarg_segment_ptr 1
		.amdhsa_user_sgpr_dispatch_id 0
		.amdhsa_user_sgpr_private_segment_size 0
		.amdhsa_wavefront_size32 1
		.amdhsa_uses_dynamic_stack 0
		.amdhsa_enable_private_segment 0
		.amdhsa_system_sgpr_workgroup_id_x 1
		.amdhsa_system_sgpr_workgroup_id_y 0
		.amdhsa_system_sgpr_workgroup_id_z 0
		.amdhsa_system_sgpr_workgroup_info 0
		.amdhsa_system_vgpr_workitem_id 0
		.amdhsa_next_free_vgpr 23
		.amdhsa_next_free_sgpr 16
		.amdhsa_reserve_vcc 1
		.amdhsa_float_round_mode_32 0
		.amdhsa_float_round_mode_16_64 0
		.amdhsa_float_denorm_mode_32 3
		.amdhsa_float_denorm_mode_16_64 3
		.amdhsa_dx10_clamp 1
		.amdhsa_ieee_mode 1
		.amdhsa_fp16_overflow 0
		.amdhsa_workgroup_processor_mode 1
		.amdhsa_memory_ordered 1
		.amdhsa_forward_progress 0
		.amdhsa_shared_vgpr_count 0
		.amdhsa_exception_fp_ieee_invalid_op 0
		.amdhsa_exception_fp_denorm_src 0
		.amdhsa_exception_fp_ieee_div_zero 0
		.amdhsa_exception_fp_ieee_overflow 0
		.amdhsa_exception_fp_ieee_underflow 0
		.amdhsa_exception_fp_ieee_inexact 0
		.amdhsa_exception_int_div_zero 0
	.end_amdhsa_kernel
	.section	.text._Z6kernelI18blocked_to_stripedN15benchmark_utils11custom_typeIffEELj256ELj7ELj100EEvPKT0_PKjPS4_,"axG",@progbits,_Z6kernelI18blocked_to_stripedN15benchmark_utils11custom_typeIffEELj256ELj7ELj100EEvPKT0_PKjPS4_,comdat
.Lfunc_end22:
	.size	_Z6kernelI18blocked_to_stripedN15benchmark_utils11custom_typeIffEELj256ELj7ELj100EEvPKT0_PKjPS4_, .Lfunc_end22-_Z6kernelI18blocked_to_stripedN15benchmark_utils11custom_typeIffEELj256ELj7ELj100EEvPKT0_PKjPS4_
                                        ; -- End function
	.section	.AMDGPU.csdata,"",@progbits
; Kernel info:
; codeLenInByte = 408
; NumSgprs: 18
; NumVgprs: 23
; ScratchSize: 0
; MemoryBound: 0
; FloatMode: 240
; IeeeMode: 1
; LDSByteSize: 14336 bytes/workgroup (compile time only)
; SGPRBlocks: 2
; VGPRBlocks: 2
; NumSGPRsForWavesPerEU: 18
; NumVGPRsForWavesPerEU: 23
; Occupancy: 16
; WaveLimiterHint : 1
; COMPUTE_PGM_RSRC2:SCRATCH_EN: 0
; COMPUTE_PGM_RSRC2:USER_SGPR: 15
; COMPUTE_PGM_RSRC2:TRAP_HANDLER: 0
; COMPUTE_PGM_RSRC2:TGID_X_EN: 1
; COMPUTE_PGM_RSRC2:TGID_Y_EN: 0
; COMPUTE_PGM_RSRC2:TGID_Z_EN: 0
; COMPUTE_PGM_RSRC2:TIDIG_COMP_CNT: 0
	.section	.text._Z6kernelI18blocked_to_stripedN15benchmark_utils11custom_typeIffEELj256ELj8ELj100EEvPKT0_PKjPS4_,"axG",@progbits,_Z6kernelI18blocked_to_stripedN15benchmark_utils11custom_typeIffEELj256ELj8ELj100EEvPKT0_PKjPS4_,comdat
	.protected	_Z6kernelI18blocked_to_stripedN15benchmark_utils11custom_typeIffEELj256ELj8ELj100EEvPKT0_PKjPS4_ ; -- Begin function _Z6kernelI18blocked_to_stripedN15benchmark_utils11custom_typeIffEELj256ELj8ELj100EEvPKT0_PKjPS4_
	.globl	_Z6kernelI18blocked_to_stripedN15benchmark_utils11custom_typeIffEELj256ELj8ELj100EEvPKT0_PKjPS4_
	.p2align	8
	.type	_Z6kernelI18blocked_to_stripedN15benchmark_utils11custom_typeIffEELj256ELj8ELj100EEvPKT0_PKjPS4_,@function
_Z6kernelI18blocked_to_stripedN15benchmark_utils11custom_typeIffEELj256ELj8ELj100EEvPKT0_PKjPS4_: ; @_Z6kernelI18blocked_to_stripedN15benchmark_utils11custom_typeIffEELj256ELj8ELj100EEvPKT0_PKjPS4_
; %bb.0:
	s_load_b64 s[4:5], s[0:1], 0x0
	s_mov_b32 s3, 0
	s_lshl_b32 s2, s15, 11
	v_lshlrev_b32_e32 v17, 6, v0
	s_lshl_b64 s[2:3], s[2:3], 3
	v_lshlrev_b32_e32 v18, 1, v0
	v_lshrrev_b32_e32 v21, 5, v0
	v_or_b32_e32 v19, 0x100, v0
	v_or_b32_e32 v20, 0x200, v0
	;; [unrolled: 1-line block ×3, first 2 shown]
	v_and_b32_e32 v18, 0x1f8, v18
	v_or_b32_e32 v23, 0x500, v0
	v_or_b32_e32 v24, 0x600, v0
	;; [unrolled: 1-line block ×3, first 2 shown]
	v_lshrrev_b32_e32 v19, 5, v19
	v_lshrrev_b32_e32 v20, 5, v20
	;; [unrolled: 1-line block ×6, first 2 shown]
	s_waitcnt lgkmcnt(0)
	s_add_u32 s4, s4, s2
	s_addc_u32 s5, s5, s3
	v_add_lshl_u32 v19, v19, v0, 3
	s_clause 0x3
	global_load_b128 v[5:8], v17, s[4:5]
	global_load_b128 v[1:4], v17, s[4:5] offset:16
	global_load_b128 v[13:16], v17, s[4:5] offset:32
	;; [unrolled: 1-line block ×3, first 2 shown]
	v_add_nc_u32_e32 v17, v18, v17
	v_add_lshl_u32 v18, v21, v0, 3
	v_or_b32_e32 v21, 0x300, v0
	v_add_lshl_u32 v20, v20, v0, 3
	v_add_lshl_u32 v22, v22, v0, 3
	;; [unrolled: 1-line block ×4, first 2 shown]
	v_lshrrev_b32_e32 v21, 5, v21
	v_add_lshl_u32 v25, v25, v0, 3
	s_movk_i32 s4, 0x64
	s_delay_alu instid0(VALU_DEP_2)
	v_add_lshl_u32 v21, v21, v0, 3
	.p2align	6
.LBB23_1:                               ; =>This Inner Loop Header: Depth=1
	s_waitcnt vmcnt(3)
	ds_store_2addr_b64 v17, v[5:6], v[7:8] offset1:1
	s_waitcnt vmcnt(2)
	ds_store_2addr_b64 v17, v[1:2], v[3:4] offset0:2 offset1:3
	s_waitcnt vmcnt(1)
	ds_store_2addr_b64 v17, v[13:14], v[15:16] offset0:4 offset1:5
	;; [unrolled: 2-line block ×3, first 2 shown]
	s_waitcnt lgkmcnt(0)
	s_barrier
	buffer_gl0_inv
	ds_load_b64 v[5:6], v18
	ds_load_b64 v[7:8], v19 offset:2048
	ds_load_b64 v[1:2], v20 offset:4096
	;; [unrolled: 1-line block ×7, first 2 shown]
	s_add_i32 s4, s4, -1
	s_waitcnt lgkmcnt(0)
	s_cmp_lg_u32 s4, 0
	s_barrier
	buffer_gl0_inv
	s_cbranch_scc1 .LBB23_1
; %bb.2:
	s_load_b64 s[0:1], s[0:1], 0x10
	v_lshlrev_b32_e32 v0, 3, v0
	s_waitcnt lgkmcnt(0)
	s_add_u32 s0, s0, s2
	s_addc_u32 s1, s1, s3
	s_delay_alu instid0(VALU_DEP_1) | instskip(NEXT) | instid1(VALU_DEP_1)
	v_add_co_u32 v23, s2, s0, v0
	v_add_co_ci_u32_e64 v24, null, s1, 0, s2
	s_delay_alu instid0(VALU_DEP_2) | instskip(NEXT) | instid1(VALU_DEP_2)
	v_add_co_u32 v17, vcc_lo, 0x1000, v23
	v_add_co_ci_u32_e32 v18, vcc_lo, 0, v24, vcc_lo
	v_add_co_u32 v19, vcc_lo, v23, 0x2000
	v_add_co_ci_u32_e32 v20, vcc_lo, 0, v24, vcc_lo
	;; [unrolled: 2-line block ×4, first 2 shown]
	s_clause 0x7
	global_store_b64 v[19:20], v[13:14], off
	global_store_b64 v0, v[5:6], s[0:1]
	global_store_b64 v0, v[7:8], s[0:1] offset:2048
	global_store_b64 v[17:18], v[3:4], off offset:2048
	global_store_b64 v[21:22], v[15:16], off offset:2048
	global_store_b64 v[23:24], v[9:10], off
	global_store_b64 v[19:20], v[1:2], off offset:-4096
	global_store_b64 v[23:24], v[11:12], off offset:2048
	s_nop 0
	s_sendmsg sendmsg(MSG_DEALLOC_VGPRS)
	s_endpgm
	.section	.rodata,"a",@progbits
	.p2align	6, 0x0
	.amdhsa_kernel _Z6kernelI18blocked_to_stripedN15benchmark_utils11custom_typeIffEELj256ELj8ELj100EEvPKT0_PKjPS4_
		.amdhsa_group_segment_fixed_size 16896
		.amdhsa_private_segment_fixed_size 0
		.amdhsa_kernarg_size 24
		.amdhsa_user_sgpr_count 15
		.amdhsa_user_sgpr_dispatch_ptr 0
		.amdhsa_user_sgpr_queue_ptr 0
		.amdhsa_user_sgpr_kernarg_segment_ptr 1
		.amdhsa_user_sgpr_dispatch_id 0
		.amdhsa_user_sgpr_private_segment_size 0
		.amdhsa_wavefront_size32 1
		.amdhsa_uses_dynamic_stack 0
		.amdhsa_enable_private_segment 0
		.amdhsa_system_sgpr_workgroup_id_x 1
		.amdhsa_system_sgpr_workgroup_id_y 0
		.amdhsa_system_sgpr_workgroup_id_z 0
		.amdhsa_system_sgpr_workgroup_info 0
		.amdhsa_system_vgpr_workitem_id 0
		.amdhsa_next_free_vgpr 26
		.amdhsa_next_free_sgpr 16
		.amdhsa_reserve_vcc 1
		.amdhsa_float_round_mode_32 0
		.amdhsa_float_round_mode_16_64 0
		.amdhsa_float_denorm_mode_32 3
		.amdhsa_float_denorm_mode_16_64 3
		.amdhsa_dx10_clamp 1
		.amdhsa_ieee_mode 1
		.amdhsa_fp16_overflow 0
		.amdhsa_workgroup_processor_mode 1
		.amdhsa_memory_ordered 1
		.amdhsa_forward_progress 0
		.amdhsa_shared_vgpr_count 0
		.amdhsa_exception_fp_ieee_invalid_op 0
		.amdhsa_exception_fp_denorm_src 0
		.amdhsa_exception_fp_ieee_div_zero 0
		.amdhsa_exception_fp_ieee_overflow 0
		.amdhsa_exception_fp_ieee_underflow 0
		.amdhsa_exception_fp_ieee_inexact 0
		.amdhsa_exception_int_div_zero 0
	.end_amdhsa_kernel
	.section	.text._Z6kernelI18blocked_to_stripedN15benchmark_utils11custom_typeIffEELj256ELj8ELj100EEvPKT0_PKjPS4_,"axG",@progbits,_Z6kernelI18blocked_to_stripedN15benchmark_utils11custom_typeIffEELj256ELj8ELj100EEvPKT0_PKjPS4_,comdat
.Lfunc_end23:
	.size	_Z6kernelI18blocked_to_stripedN15benchmark_utils11custom_typeIffEELj256ELj8ELj100EEvPKT0_PKjPS4_, .Lfunc_end23-_Z6kernelI18blocked_to_stripedN15benchmark_utils11custom_typeIffEELj256ELj8ELj100EEvPKT0_PKjPS4_
                                        ; -- End function
	.section	.AMDGPU.csdata,"",@progbits
; Kernel info:
; codeLenInByte = 596
; NumSgprs: 18
; NumVgprs: 26
; ScratchSize: 0
; MemoryBound: 0
; FloatMode: 240
; IeeeMode: 1
; LDSByteSize: 16896 bytes/workgroup (compile time only)
; SGPRBlocks: 2
; VGPRBlocks: 3
; NumSGPRsForWavesPerEU: 18
; NumVGPRsForWavesPerEU: 26
; Occupancy: 14
; WaveLimiterHint : 1
; COMPUTE_PGM_RSRC2:SCRATCH_EN: 0
; COMPUTE_PGM_RSRC2:USER_SGPR: 15
; COMPUTE_PGM_RSRC2:TRAP_HANDLER: 0
; COMPUTE_PGM_RSRC2:TGID_X_EN: 1
; COMPUTE_PGM_RSRC2:TGID_Y_EN: 0
; COMPUTE_PGM_RSRC2:TGID_Z_EN: 0
; COMPUTE_PGM_RSRC2:TIDIG_COMP_CNT: 0
	.section	.text._Z6kernelI18blocked_to_stripedN15benchmark_utils11custom_typeIddEELj256ELj1ELj100EEvPKT0_PKjPS4_,"axG",@progbits,_Z6kernelI18blocked_to_stripedN15benchmark_utils11custom_typeIddEELj256ELj1ELj100EEvPKT0_PKjPS4_,comdat
	.protected	_Z6kernelI18blocked_to_stripedN15benchmark_utils11custom_typeIddEELj256ELj1ELj100EEvPKT0_PKjPS4_ ; -- Begin function _Z6kernelI18blocked_to_stripedN15benchmark_utils11custom_typeIddEELj256ELj1ELj100EEvPKT0_PKjPS4_
	.globl	_Z6kernelI18blocked_to_stripedN15benchmark_utils11custom_typeIddEELj256ELj1ELj100EEvPKT0_PKjPS4_
	.p2align	8
	.type	_Z6kernelI18blocked_to_stripedN15benchmark_utils11custom_typeIddEELj256ELj1ELj100EEvPKT0_PKjPS4_,@function
_Z6kernelI18blocked_to_stripedN15benchmark_utils11custom_typeIddEELj256ELj1ELj100EEvPKT0_PKjPS4_: ; @_Z6kernelI18blocked_to_stripedN15benchmark_utils11custom_typeIddEELj256ELj1ELj100EEvPKT0_PKjPS4_
; %bb.0:
	s_load_b64 s[4:5], s[0:1], 0x0
	s_lshl_b32 s2, s15, 8
	s_mov_b32 s3, 0
	v_lshlrev_b32_e32 v5, 4, v0
	s_lshl_b64 s[2:3], s[2:3], 4
	s_waitcnt lgkmcnt(0)
	s_add_u32 s4, s4, s2
	s_addc_u32 s5, s5, s3
	global_load_b128 v[1:4], v5, s[4:5]
	s_movk_i32 s4, 0x64
.LBB24_1:                               ; =>This Inner Loop Header: Depth=1
	s_waitcnt vmcnt(0)
	ds_store_b128 v5, v[1:4]
	s_waitcnt lgkmcnt(0)
	s_barrier
	buffer_gl0_inv
	ds_load_b128 v[1:4], v5
	s_add_i32 s4, s4, -1
	s_waitcnt lgkmcnt(0)
	s_cmp_lg_u32 s4, 0
	s_barrier
	buffer_gl0_inv
	s_cbranch_scc1 .LBB24_1
; %bb.2:
	s_load_b64 s[0:1], s[0:1], 0x10
	v_lshlrev_b32_e32 v0, 4, v0
	s_waitcnt lgkmcnt(0)
	s_add_u32 s0, s0, s2
	s_addc_u32 s1, s1, s3
	global_store_b128 v0, v[1:4], s[0:1]
	s_nop 0
	s_sendmsg sendmsg(MSG_DEALLOC_VGPRS)
	s_endpgm
	.section	.rodata,"a",@progbits
	.p2align	6, 0x0
	.amdhsa_kernel _Z6kernelI18blocked_to_stripedN15benchmark_utils11custom_typeIddEELj256ELj1ELj100EEvPKT0_PKjPS4_
		.amdhsa_group_segment_fixed_size 4096
		.amdhsa_private_segment_fixed_size 0
		.amdhsa_kernarg_size 24
		.amdhsa_user_sgpr_count 15
		.amdhsa_user_sgpr_dispatch_ptr 0
		.amdhsa_user_sgpr_queue_ptr 0
		.amdhsa_user_sgpr_kernarg_segment_ptr 1
		.amdhsa_user_sgpr_dispatch_id 0
		.amdhsa_user_sgpr_private_segment_size 0
		.amdhsa_wavefront_size32 1
		.amdhsa_uses_dynamic_stack 0
		.amdhsa_enable_private_segment 0
		.amdhsa_system_sgpr_workgroup_id_x 1
		.amdhsa_system_sgpr_workgroup_id_y 0
		.amdhsa_system_sgpr_workgroup_id_z 0
		.amdhsa_system_sgpr_workgroup_info 0
		.amdhsa_system_vgpr_workitem_id 0
		.amdhsa_next_free_vgpr 6
		.amdhsa_next_free_sgpr 16
		.amdhsa_reserve_vcc 0
		.amdhsa_float_round_mode_32 0
		.amdhsa_float_round_mode_16_64 0
		.amdhsa_float_denorm_mode_32 3
		.amdhsa_float_denorm_mode_16_64 3
		.amdhsa_dx10_clamp 1
		.amdhsa_ieee_mode 1
		.amdhsa_fp16_overflow 0
		.amdhsa_workgroup_processor_mode 1
		.amdhsa_memory_ordered 1
		.amdhsa_forward_progress 0
		.amdhsa_shared_vgpr_count 0
		.amdhsa_exception_fp_ieee_invalid_op 0
		.amdhsa_exception_fp_denorm_src 0
		.amdhsa_exception_fp_ieee_div_zero 0
		.amdhsa_exception_fp_ieee_overflow 0
		.amdhsa_exception_fp_ieee_underflow 0
		.amdhsa_exception_fp_ieee_inexact 0
		.amdhsa_exception_int_div_zero 0
	.end_amdhsa_kernel
	.section	.text._Z6kernelI18blocked_to_stripedN15benchmark_utils11custom_typeIddEELj256ELj1ELj100EEvPKT0_PKjPS4_,"axG",@progbits,_Z6kernelI18blocked_to_stripedN15benchmark_utils11custom_typeIddEELj256ELj1ELj100EEvPKT0_PKjPS4_,comdat
.Lfunc_end24:
	.size	_Z6kernelI18blocked_to_stripedN15benchmark_utils11custom_typeIddEELj256ELj1ELj100EEvPKT0_PKjPS4_, .Lfunc_end24-_Z6kernelI18blocked_to_stripedN15benchmark_utils11custom_typeIddEELj256ELj1ELj100EEvPKT0_PKjPS4_
                                        ; -- End function
	.section	.AMDGPU.csdata,"",@progbits
; Kernel info:
; codeLenInByte = 156
; NumSgprs: 16
; NumVgprs: 6
; ScratchSize: 0
; MemoryBound: 0
; FloatMode: 240
; IeeeMode: 1
; LDSByteSize: 4096 bytes/workgroup (compile time only)
; SGPRBlocks: 1
; VGPRBlocks: 0
; NumSGPRsForWavesPerEU: 16
; NumVGPRsForWavesPerEU: 6
; Occupancy: 16
; WaveLimiterHint : 0
; COMPUTE_PGM_RSRC2:SCRATCH_EN: 0
; COMPUTE_PGM_RSRC2:USER_SGPR: 15
; COMPUTE_PGM_RSRC2:TRAP_HANDLER: 0
; COMPUTE_PGM_RSRC2:TGID_X_EN: 1
; COMPUTE_PGM_RSRC2:TGID_Y_EN: 0
; COMPUTE_PGM_RSRC2:TGID_Z_EN: 0
; COMPUTE_PGM_RSRC2:TIDIG_COMP_CNT: 0
	.section	.text._Z6kernelI18blocked_to_stripedN15benchmark_utils11custom_typeIddEELj256ELj2ELj100EEvPKT0_PKjPS4_,"axG",@progbits,_Z6kernelI18blocked_to_stripedN15benchmark_utils11custom_typeIddEELj256ELj2ELj100EEvPKT0_PKjPS4_,comdat
	.protected	_Z6kernelI18blocked_to_stripedN15benchmark_utils11custom_typeIddEELj256ELj2ELj100EEvPKT0_PKjPS4_ ; -- Begin function _Z6kernelI18blocked_to_stripedN15benchmark_utils11custom_typeIddEELj256ELj2ELj100EEvPKT0_PKjPS4_
	.globl	_Z6kernelI18blocked_to_stripedN15benchmark_utils11custom_typeIddEELj256ELj2ELj100EEvPKT0_PKjPS4_
	.p2align	8
	.type	_Z6kernelI18blocked_to_stripedN15benchmark_utils11custom_typeIddEELj256ELj2ELj100EEvPKT0_PKjPS4_,@function
_Z6kernelI18blocked_to_stripedN15benchmark_utils11custom_typeIddEELj256ELj2ELj100EEvPKT0_PKjPS4_: ; @_Z6kernelI18blocked_to_stripedN15benchmark_utils11custom_typeIddEELj256ELj2ELj100EEvPKT0_PKjPS4_
; %bb.0:
	s_load_b64 s[4:5], s[0:1], 0x0
	s_mov_b32 s3, 0
	s_lshl_b32 s2, s15, 9
	v_lshlrev_b32_e32 v9, 5, v0
	s_lshl_b64 s[2:3], s[2:3], 4
	v_or_b32_e32 v10, 0x100, v0
	v_and_b32_e32 v11, 0xf0, v0
	v_lshrrev_b32_e32 v12, 5, v0
	s_delay_alu instid0(VALU_DEP_3) | instskip(NEXT) | instid1(VALU_DEP_2)
	v_lshrrev_b32_e32 v13, 5, v10
	v_add_lshl_u32 v10, v12, v0, 4
	s_waitcnt lgkmcnt(0)
	s_add_u32 s4, s4, s2
	s_addc_u32 s5, s5, s3
	s_clause 0x1
	global_load_b128 v[1:4], v9, s[4:5] offset:16
	global_load_b128 v[5:8], v9, s[4:5]
	v_add_nc_u32_e32 v9, v11, v9
	v_add_lshl_u32 v11, v13, v0, 4
	s_movk_i32 s4, 0x64
.LBB25_1:                               ; =>This Inner Loop Header: Depth=1
	s_waitcnt vmcnt(0)
	ds_store_b128 v9, v[5:8]
	ds_store_b128 v9, v[1:4] offset:16
	s_waitcnt lgkmcnt(0)
	s_barrier
	buffer_gl0_inv
	ds_load_b128 v[5:8], v10
	ds_load_b128 v[1:4], v11 offset:4096
	s_add_i32 s4, s4, -1
	s_waitcnt lgkmcnt(0)
	s_cmp_lg_u32 s4, 0
	s_barrier
	buffer_gl0_inv
	s_cbranch_scc1 .LBB25_1
; %bb.2:
	s_load_b64 s[0:1], s[0:1], 0x10
	v_lshlrev_b32_e32 v0, 4, v0
	s_waitcnt lgkmcnt(0)
	s_add_u32 s0, s0, s2
	s_addc_u32 s1, s1, s3
	s_delay_alu instid0(VALU_DEP_1) | instskip(NEXT) | instid1(VALU_DEP_1)
	v_add_co_u32 v9, s2, s0, v0
	v_add_co_ci_u32_e64 v10, null, s1, 0, s2
	s_delay_alu instid0(VALU_DEP_2) | instskip(NEXT) | instid1(VALU_DEP_2)
	v_add_co_u32 v9, vcc_lo, 0x1000, v9
	v_add_co_ci_u32_e32 v10, vcc_lo, 0, v10, vcc_lo
	s_clause 0x1
	global_store_b128 v0, v[5:8], s[0:1]
	global_store_b128 v[9:10], v[1:4], off
	s_nop 0
	s_sendmsg sendmsg(MSG_DEALLOC_VGPRS)
	s_endpgm
	.section	.rodata,"a",@progbits
	.p2align	6, 0x0
	.amdhsa_kernel _Z6kernelI18blocked_to_stripedN15benchmark_utils11custom_typeIddEELj256ELj2ELj100EEvPKT0_PKjPS4_
		.amdhsa_group_segment_fixed_size 8448
		.amdhsa_private_segment_fixed_size 0
		.amdhsa_kernarg_size 24
		.amdhsa_user_sgpr_count 15
		.amdhsa_user_sgpr_dispatch_ptr 0
		.amdhsa_user_sgpr_queue_ptr 0
		.amdhsa_user_sgpr_kernarg_segment_ptr 1
		.amdhsa_user_sgpr_dispatch_id 0
		.amdhsa_user_sgpr_private_segment_size 0
		.amdhsa_wavefront_size32 1
		.amdhsa_uses_dynamic_stack 0
		.amdhsa_enable_private_segment 0
		.amdhsa_system_sgpr_workgroup_id_x 1
		.amdhsa_system_sgpr_workgroup_id_y 0
		.amdhsa_system_sgpr_workgroup_id_z 0
		.amdhsa_system_sgpr_workgroup_info 0
		.amdhsa_system_vgpr_workitem_id 0
		.amdhsa_next_free_vgpr 14
		.amdhsa_next_free_sgpr 16
		.amdhsa_reserve_vcc 1
		.amdhsa_float_round_mode_32 0
		.amdhsa_float_round_mode_16_64 0
		.amdhsa_float_denorm_mode_32 3
		.amdhsa_float_denorm_mode_16_64 3
		.amdhsa_dx10_clamp 1
		.amdhsa_ieee_mode 1
		.amdhsa_fp16_overflow 0
		.amdhsa_workgroup_processor_mode 1
		.amdhsa_memory_ordered 1
		.amdhsa_forward_progress 0
		.amdhsa_shared_vgpr_count 0
		.amdhsa_exception_fp_ieee_invalid_op 0
		.amdhsa_exception_fp_denorm_src 0
		.amdhsa_exception_fp_ieee_div_zero 0
		.amdhsa_exception_fp_ieee_overflow 0
		.amdhsa_exception_fp_ieee_underflow 0
		.amdhsa_exception_fp_ieee_inexact 0
		.amdhsa_exception_int_div_zero 0
	.end_amdhsa_kernel
	.section	.text._Z6kernelI18blocked_to_stripedN15benchmark_utils11custom_typeIddEELj256ELj2ELj100EEvPKT0_PKjPS4_,"axG",@progbits,_Z6kernelI18blocked_to_stripedN15benchmark_utils11custom_typeIddEELj256ELj2ELj100EEvPKT0_PKjPS4_,comdat
.Lfunc_end25:
	.size	_Z6kernelI18blocked_to_stripedN15benchmark_utils11custom_typeIddEELj256ELj2ELj100EEvPKT0_PKjPS4_, .Lfunc_end25-_Z6kernelI18blocked_to_stripedN15benchmark_utils11custom_typeIddEELj256ELj2ELj100EEvPKT0_PKjPS4_
                                        ; -- End function
	.section	.AMDGPU.csdata,"",@progbits
; Kernel info:
; codeLenInByte = 284
; NumSgprs: 18
; NumVgprs: 14
; ScratchSize: 0
; MemoryBound: 0
; FloatMode: 240
; IeeeMode: 1
; LDSByteSize: 8448 bytes/workgroup (compile time only)
; SGPRBlocks: 2
; VGPRBlocks: 1
; NumSGPRsForWavesPerEU: 18
; NumVGPRsForWavesPerEU: 14
; Occupancy: 16
; WaveLimiterHint : 1
; COMPUTE_PGM_RSRC2:SCRATCH_EN: 0
; COMPUTE_PGM_RSRC2:USER_SGPR: 15
; COMPUTE_PGM_RSRC2:TRAP_HANDLER: 0
; COMPUTE_PGM_RSRC2:TGID_X_EN: 1
; COMPUTE_PGM_RSRC2:TGID_Y_EN: 0
; COMPUTE_PGM_RSRC2:TGID_Z_EN: 0
; COMPUTE_PGM_RSRC2:TIDIG_COMP_CNT: 0
	.section	.text._Z6kernelI18blocked_to_stripedN15benchmark_utils11custom_typeIddEELj256ELj3ELj100EEvPKT0_PKjPS4_,"axG",@progbits,_Z6kernelI18blocked_to_stripedN15benchmark_utils11custom_typeIddEELj256ELj3ELj100EEvPKT0_PKjPS4_,comdat
	.protected	_Z6kernelI18blocked_to_stripedN15benchmark_utils11custom_typeIddEELj256ELj3ELj100EEvPKT0_PKjPS4_ ; -- Begin function _Z6kernelI18blocked_to_stripedN15benchmark_utils11custom_typeIddEELj256ELj3ELj100EEvPKT0_PKjPS4_
	.globl	_Z6kernelI18blocked_to_stripedN15benchmark_utils11custom_typeIddEELj256ELj3ELj100EEvPKT0_PKjPS4_
	.p2align	8
	.type	_Z6kernelI18blocked_to_stripedN15benchmark_utils11custom_typeIddEELj256ELj3ELj100EEvPKT0_PKjPS4_,@function
_Z6kernelI18blocked_to_stripedN15benchmark_utils11custom_typeIddEELj256ELj3ELj100EEvPKT0_PKjPS4_: ; @_Z6kernelI18blocked_to_stripedN15benchmark_utils11custom_typeIddEELj256ELj3ELj100EEvPKT0_PKjPS4_
; %bb.0:
	s_load_b64 s[4:5], s[0:1], 0x0
	v_mul_u32_u24_e32 v1, 3, v0
	s_mov_b32 s3, 0
	s_mul_i32 s2, s15, 0x300
	v_lshlrev_b32_e32 v14, 5, v0
	s_lshl_b64 s[2:3], s[2:3], 4
	v_lshlrev_b32_e32 v13, 4, v1
	s_delay_alu instid0(VALU_DEP_2) | instskip(NEXT) | instid1(VALU_DEP_1)
	v_sub_nc_u32_e32 v14, 0, v14
	v_add_nc_u32_e32 v14, v13, v14
	s_waitcnt lgkmcnt(0)
	s_add_u32 s4, s4, s2
	s_addc_u32 s5, s5, s3
	s_clause 0x2
	global_load_b128 v[1:4], v13, s[4:5] offset:32
	global_load_b128 v[5:8], v13, s[4:5] offset:16
	global_load_b128 v[9:12], v13, s[4:5]
	s_movk_i32 s4, 0x64
	.p2align	6
.LBB26_1:                               ; =>This Inner Loop Header: Depth=1
	s_waitcnt vmcnt(0)
	ds_store_b128 v13, v[9:12]
	ds_store_b128 v13, v[5:8] offset:16
	ds_store_b128 v13, v[1:4] offset:32
	s_waitcnt lgkmcnt(0)
	s_barrier
	buffer_gl0_inv
	ds_load_b128 v[9:12], v14
	ds_load_b128 v[5:8], v14 offset:4096
	ds_load_b128 v[1:4], v14 offset:8192
	s_add_i32 s4, s4, -1
	s_waitcnt lgkmcnt(0)
	s_cmp_lg_u32 s4, 0
	s_barrier
	buffer_gl0_inv
	s_cbranch_scc1 .LBB26_1
; %bb.2:
	s_load_b64 s[0:1], s[0:1], 0x10
	v_lshlrev_b32_e32 v0, 4, v0
	s_waitcnt lgkmcnt(0)
	s_add_u32 s0, s0, s2
	s_addc_u32 s1, s1, s3
	s_delay_alu instid0(VALU_DEP_1) | instskip(NEXT) | instid1(VALU_DEP_1)
	v_add_co_u32 v13, s2, s0, v0
	v_add_co_ci_u32_e64 v14, null, s1, 0, s2
	s_delay_alu instid0(VALU_DEP_2) | instskip(NEXT) | instid1(VALU_DEP_2)
	v_add_co_u32 v13, vcc_lo, v13, 0x2000
	v_add_co_ci_u32_e32 v14, vcc_lo, 0, v14, vcc_lo
	s_clause 0x2
	global_store_b128 v0, v[9:12], s[0:1]
	global_store_b128 v[13:14], v[5:8], off offset:-4096
	global_store_b128 v[13:14], v[1:4], off
	s_nop 0
	s_sendmsg sendmsg(MSG_DEALLOC_VGPRS)
	s_endpgm
	.section	.rodata,"a",@progbits
	.p2align	6, 0x0
	.amdhsa_kernel _Z6kernelI18blocked_to_stripedN15benchmark_utils11custom_typeIddEELj256ELj3ELj100EEvPKT0_PKjPS4_
		.amdhsa_group_segment_fixed_size 12288
		.amdhsa_private_segment_fixed_size 0
		.amdhsa_kernarg_size 24
		.amdhsa_user_sgpr_count 15
		.amdhsa_user_sgpr_dispatch_ptr 0
		.amdhsa_user_sgpr_queue_ptr 0
		.amdhsa_user_sgpr_kernarg_segment_ptr 1
		.amdhsa_user_sgpr_dispatch_id 0
		.amdhsa_user_sgpr_private_segment_size 0
		.amdhsa_wavefront_size32 1
		.amdhsa_uses_dynamic_stack 0
		.amdhsa_enable_private_segment 0
		.amdhsa_system_sgpr_workgroup_id_x 1
		.amdhsa_system_sgpr_workgroup_id_y 0
		.amdhsa_system_sgpr_workgroup_id_z 0
		.amdhsa_system_sgpr_workgroup_info 0
		.amdhsa_system_vgpr_workitem_id 0
		.amdhsa_next_free_vgpr 15
		.amdhsa_next_free_sgpr 16
		.amdhsa_reserve_vcc 1
		.amdhsa_float_round_mode_32 0
		.amdhsa_float_round_mode_16_64 0
		.amdhsa_float_denorm_mode_32 3
		.amdhsa_float_denorm_mode_16_64 3
		.amdhsa_dx10_clamp 1
		.amdhsa_ieee_mode 1
		.amdhsa_fp16_overflow 0
		.amdhsa_workgroup_processor_mode 1
		.amdhsa_memory_ordered 1
		.amdhsa_forward_progress 0
		.amdhsa_shared_vgpr_count 0
		.amdhsa_exception_fp_ieee_invalid_op 0
		.amdhsa_exception_fp_denorm_src 0
		.amdhsa_exception_fp_ieee_div_zero 0
		.amdhsa_exception_fp_ieee_overflow 0
		.amdhsa_exception_fp_ieee_underflow 0
		.amdhsa_exception_fp_ieee_inexact 0
		.amdhsa_exception_int_div_zero 0
	.end_amdhsa_kernel
	.section	.text._Z6kernelI18blocked_to_stripedN15benchmark_utils11custom_typeIddEELj256ELj3ELj100EEvPKT0_PKjPS4_,"axG",@progbits,_Z6kernelI18blocked_to_stripedN15benchmark_utils11custom_typeIddEELj256ELj3ELj100EEvPKT0_PKjPS4_,comdat
.Lfunc_end26:
	.size	_Z6kernelI18blocked_to_stripedN15benchmark_utils11custom_typeIddEELj256ELj3ELj100EEvPKT0_PKjPS4_, .Lfunc_end26-_Z6kernelI18blocked_to_stripedN15benchmark_utils11custom_typeIddEELj256ELj3ELj100EEvPKT0_PKjPS4_
                                        ; -- End function
	.section	.AMDGPU.csdata,"",@progbits
; Kernel info:
; codeLenInByte = 292
; NumSgprs: 18
; NumVgprs: 15
; ScratchSize: 0
; MemoryBound: 1
; FloatMode: 240
; IeeeMode: 1
; LDSByteSize: 12288 bytes/workgroup (compile time only)
; SGPRBlocks: 2
; VGPRBlocks: 1
; NumSGPRsForWavesPerEU: 18
; NumVGPRsForWavesPerEU: 15
; Occupancy: 16
; WaveLimiterHint : 1
; COMPUTE_PGM_RSRC2:SCRATCH_EN: 0
; COMPUTE_PGM_RSRC2:USER_SGPR: 15
; COMPUTE_PGM_RSRC2:TRAP_HANDLER: 0
; COMPUTE_PGM_RSRC2:TGID_X_EN: 1
; COMPUTE_PGM_RSRC2:TGID_Y_EN: 0
; COMPUTE_PGM_RSRC2:TGID_Z_EN: 0
; COMPUTE_PGM_RSRC2:TIDIG_COMP_CNT: 0
	.section	.text._Z6kernelI18blocked_to_stripedN15benchmark_utils11custom_typeIddEELj256ELj4ELj100EEvPKT0_PKjPS4_,"axG",@progbits,_Z6kernelI18blocked_to_stripedN15benchmark_utils11custom_typeIddEELj256ELj4ELj100EEvPKT0_PKjPS4_,comdat
	.protected	_Z6kernelI18blocked_to_stripedN15benchmark_utils11custom_typeIddEELj256ELj4ELj100EEvPKT0_PKjPS4_ ; -- Begin function _Z6kernelI18blocked_to_stripedN15benchmark_utils11custom_typeIddEELj256ELj4ELj100EEvPKT0_PKjPS4_
	.globl	_Z6kernelI18blocked_to_stripedN15benchmark_utils11custom_typeIddEELj256ELj4ELj100EEvPKT0_PKjPS4_
	.p2align	8
	.type	_Z6kernelI18blocked_to_stripedN15benchmark_utils11custom_typeIddEELj256ELj4ELj100EEvPKT0_PKjPS4_,@function
_Z6kernelI18blocked_to_stripedN15benchmark_utils11custom_typeIddEELj256ELj4ELj100EEvPKT0_PKjPS4_: ; @_Z6kernelI18blocked_to_stripedN15benchmark_utils11custom_typeIddEELj256ELj4ELj100EEvPKT0_PKjPS4_
; %bb.0:
	s_load_b64 s[4:5], s[0:1], 0x0
	s_mov_b32 s3, 0
	s_lshl_b32 s2, s15, 10
	v_lshlrev_b32_e32 v17, 6, v0
	s_lshl_b64 s[2:3], s[2:3], 4
	v_lshlrev_b32_e32 v18, 1, v0
	v_or_b32_e32 v19, 0x100, v0
	v_or_b32_e32 v20, 0x200, v0
	;; [unrolled: 1-line block ×3, first 2 shown]
	v_lshrrev_b32_e32 v22, 5, v0
	v_and_b32_e32 v18, 0x1f0, v18
	v_lshrrev_b32_e32 v19, 5, v19
	v_lshrrev_b32_e32 v20, 5, v20
	;; [unrolled: 1-line block ×3, first 2 shown]
	s_delay_alu instid0(VALU_DEP_3) | instskip(NEXT) | instid1(VALU_DEP_3)
	v_add_lshl_u32 v19, v19, v0, 4
	v_add_lshl_u32 v20, v20, v0, 4
	s_delay_alu instid0(VALU_DEP_3)
	v_add_lshl_u32 v21, v21, v0, 4
	s_waitcnt lgkmcnt(0)
	s_add_u32 s4, s4, s2
	s_addc_u32 s5, s5, s3
	s_clause 0x3
	global_load_b128 v[1:4], v17, s[4:5] offset:48
	global_load_b128 v[5:8], v17, s[4:5] offset:32
	global_load_b128 v[9:12], v17, s[4:5] offset:16
	global_load_b128 v[13:16], v17, s[4:5]
	v_add_nc_u32_e32 v17, v18, v17
	v_add_lshl_u32 v18, v22, v0, 4
	s_movk_i32 s4, 0x64
	.p2align	6
.LBB27_1:                               ; =>This Inner Loop Header: Depth=1
	s_waitcnt vmcnt(0)
	ds_store_b128 v17, v[13:16]
	ds_store_b128 v17, v[9:12] offset:16
	ds_store_b128 v17, v[5:8] offset:32
	;; [unrolled: 1-line block ×3, first 2 shown]
	s_waitcnt lgkmcnt(0)
	s_barrier
	buffer_gl0_inv
	ds_load_b128 v[13:16], v18
	ds_load_b128 v[9:12], v19 offset:4096
	ds_load_b128 v[5:8], v20 offset:8192
	;; [unrolled: 1-line block ×3, first 2 shown]
	s_add_i32 s4, s4, -1
	s_waitcnt lgkmcnt(0)
	s_cmp_lg_u32 s4, 0
	s_barrier
	buffer_gl0_inv
	s_cbranch_scc1 .LBB27_1
; %bb.2:
	s_load_b64 s[0:1], s[0:1], 0x10
	v_lshlrev_b32_e32 v0, 4, v0
	s_waitcnt lgkmcnt(0)
	s_add_u32 s0, s0, s2
	s_addc_u32 s1, s1, s3
	s_delay_alu instid0(VALU_DEP_1) | instskip(NEXT) | instid1(VALU_DEP_1)
	v_add_co_u32 v19, s2, s0, v0
	v_add_co_ci_u32_e64 v20, null, s1, 0, s2
	s_delay_alu instid0(VALU_DEP_2) | instskip(NEXT) | instid1(VALU_DEP_2)
	v_add_co_u32 v17, vcc_lo, v19, 0x2000
	v_add_co_ci_u32_e32 v18, vcc_lo, 0, v20, vcc_lo
	v_add_co_u32 v19, vcc_lo, 0x3000, v19
	v_add_co_ci_u32_e32 v20, vcc_lo, 0, v20, vcc_lo
	s_clause 0x3
	global_store_b128 v[17:18], v[9:12], off offset:-4096
	global_store_b128 v[17:18], v[5:8], off
	global_store_b128 v0, v[13:16], s[0:1]
	global_store_b128 v[19:20], v[1:4], off
	s_nop 0
	s_sendmsg sendmsg(MSG_DEALLOC_VGPRS)
	s_endpgm
	.section	.rodata,"a",@progbits
	.p2align	6, 0x0
	.amdhsa_kernel _Z6kernelI18blocked_to_stripedN15benchmark_utils11custom_typeIddEELj256ELj4ELj100EEvPKT0_PKjPS4_
		.amdhsa_group_segment_fixed_size 16896
		.amdhsa_private_segment_fixed_size 0
		.amdhsa_kernarg_size 24
		.amdhsa_user_sgpr_count 15
		.amdhsa_user_sgpr_dispatch_ptr 0
		.amdhsa_user_sgpr_queue_ptr 0
		.amdhsa_user_sgpr_kernarg_segment_ptr 1
		.amdhsa_user_sgpr_dispatch_id 0
		.amdhsa_user_sgpr_private_segment_size 0
		.amdhsa_wavefront_size32 1
		.amdhsa_uses_dynamic_stack 0
		.amdhsa_enable_private_segment 0
		.amdhsa_system_sgpr_workgroup_id_x 1
		.amdhsa_system_sgpr_workgroup_id_y 0
		.amdhsa_system_sgpr_workgroup_id_z 0
		.amdhsa_system_sgpr_workgroup_info 0
		.amdhsa_system_vgpr_workitem_id 0
		.amdhsa_next_free_vgpr 23
		.amdhsa_next_free_sgpr 16
		.amdhsa_reserve_vcc 1
		.amdhsa_float_round_mode_32 0
		.amdhsa_float_round_mode_16_64 0
		.amdhsa_float_denorm_mode_32 3
		.amdhsa_float_denorm_mode_16_64 3
		.amdhsa_dx10_clamp 1
		.amdhsa_ieee_mode 1
		.amdhsa_fp16_overflow 0
		.amdhsa_workgroup_processor_mode 1
		.amdhsa_memory_ordered 1
		.amdhsa_forward_progress 0
		.amdhsa_shared_vgpr_count 0
		.amdhsa_exception_fp_ieee_invalid_op 0
		.amdhsa_exception_fp_denorm_src 0
		.amdhsa_exception_fp_ieee_div_zero 0
		.amdhsa_exception_fp_ieee_overflow 0
		.amdhsa_exception_fp_ieee_underflow 0
		.amdhsa_exception_fp_ieee_inexact 0
		.amdhsa_exception_int_div_zero 0
	.end_amdhsa_kernel
	.section	.text._Z6kernelI18blocked_to_stripedN15benchmark_utils11custom_typeIddEELj256ELj4ELj100EEvPKT0_PKjPS4_,"axG",@progbits,_Z6kernelI18blocked_to_stripedN15benchmark_utils11custom_typeIddEELj256ELj4ELj100EEvPKT0_PKjPS4_,comdat
.Lfunc_end27:
	.size	_Z6kernelI18blocked_to_stripedN15benchmark_utils11custom_typeIddEELj256ELj4ELj100EEvPKT0_PKjPS4_, .Lfunc_end27-_Z6kernelI18blocked_to_stripedN15benchmark_utils11custom_typeIddEELj256ELj4ELj100EEvPKT0_PKjPS4_
                                        ; -- End function
	.section	.AMDGPU.csdata,"",@progbits
; Kernel info:
; codeLenInByte = 412
; NumSgprs: 18
; NumVgprs: 23
; ScratchSize: 0
; MemoryBound: 0
; FloatMode: 240
; IeeeMode: 1
; LDSByteSize: 16896 bytes/workgroup (compile time only)
; SGPRBlocks: 2
; VGPRBlocks: 2
; NumSGPRsForWavesPerEU: 18
; NumVGPRsForWavesPerEU: 23
; Occupancy: 14
; WaveLimiterHint : 1
; COMPUTE_PGM_RSRC2:SCRATCH_EN: 0
; COMPUTE_PGM_RSRC2:USER_SGPR: 15
; COMPUTE_PGM_RSRC2:TRAP_HANDLER: 0
; COMPUTE_PGM_RSRC2:TGID_X_EN: 1
; COMPUTE_PGM_RSRC2:TGID_Y_EN: 0
; COMPUTE_PGM_RSRC2:TGID_Z_EN: 0
; COMPUTE_PGM_RSRC2:TIDIG_COMP_CNT: 0
	.section	.text._Z6kernelI18blocked_to_stripedN15benchmark_utils11custom_typeIddEELj256ELj7ELj100EEvPKT0_PKjPS4_,"axG",@progbits,_Z6kernelI18blocked_to_stripedN15benchmark_utils11custom_typeIddEELj256ELj7ELj100EEvPKT0_PKjPS4_,comdat
	.protected	_Z6kernelI18blocked_to_stripedN15benchmark_utils11custom_typeIddEELj256ELj7ELj100EEvPKT0_PKjPS4_ ; -- Begin function _Z6kernelI18blocked_to_stripedN15benchmark_utils11custom_typeIddEELj256ELj7ELj100EEvPKT0_PKjPS4_
	.globl	_Z6kernelI18blocked_to_stripedN15benchmark_utils11custom_typeIddEELj256ELj7ELj100EEvPKT0_PKjPS4_
	.p2align	8
	.type	_Z6kernelI18blocked_to_stripedN15benchmark_utils11custom_typeIddEELj256ELj7ELj100EEvPKT0_PKjPS4_,@function
_Z6kernelI18blocked_to_stripedN15benchmark_utils11custom_typeIddEELj256ELj7ELj100EEvPKT0_PKjPS4_: ; @_Z6kernelI18blocked_to_stripedN15benchmark_utils11custom_typeIddEELj256ELj7ELj100EEvPKT0_PKjPS4_
; %bb.0:
	s_load_b64 s[4:5], s[0:1], 0x0
	v_mul_u32_u24_e32 v1, 7, v0
	s_mov_b32 s3, 0
	s_mul_i32 s2, s15, 0x700
	v_mul_i32_i24_e32 v30, 0xffffffa0, v0
	s_lshl_b64 s[2:3], s[2:3], 4
	v_lshlrev_b32_e32 v29, 4, v1
	s_delay_alu instid0(VALU_DEP_1)
	v_add_nc_u32_e32 v30, v29, v30
	s_waitcnt lgkmcnt(0)
	s_add_u32 s4, s4, s2
	s_addc_u32 s5, s5, s3
	s_clause 0x6
	global_load_b128 v[1:4], v29, s[4:5] offset:48
	global_load_b128 v[5:8], v29, s[4:5] offset:32
	;; [unrolled: 1-line block ×3, first 2 shown]
	global_load_b128 v[13:16], v29, s[4:5]
	global_load_b128 v[17:20], v29, s[4:5] offset:96
	global_load_b128 v[21:24], v29, s[4:5] offset:80
	;; [unrolled: 1-line block ×3, first 2 shown]
	s_movk_i32 s4, 0x64
	s_set_inst_prefetch_distance 0x1
	.p2align	6
.LBB28_1:                               ; =>This Inner Loop Header: Depth=1
	s_waitcnt vmcnt(3)
	ds_store_b128 v29, v[13:16]
	ds_store_b128 v29, v[9:12] offset:16
	ds_store_b128 v29, v[5:8] offset:32
	;; [unrolled: 1-line block ×3, first 2 shown]
	s_waitcnt vmcnt(0)
	ds_store_b128 v29, v[25:28] offset:64
	ds_store_b128 v29, v[21:24] offset:80
	;; [unrolled: 1-line block ×3, first 2 shown]
	s_waitcnt lgkmcnt(0)
	s_barrier
	buffer_gl0_inv
	ds_load_b128 v[13:16], v30
	ds_load_b128 v[9:12], v30 offset:4096
	ds_load_b128 v[5:8], v30 offset:8192
	;; [unrolled: 1-line block ×6, first 2 shown]
	s_add_i32 s4, s4, -1
	s_waitcnt lgkmcnt(0)
	s_cmp_lg_u32 s4, 0
	s_barrier
	buffer_gl0_inv
	s_cbranch_scc1 .LBB28_1
; %bb.2:
	s_set_inst_prefetch_distance 0x2
	s_load_b64 s[0:1], s[0:1], 0x10
	v_lshlrev_b32_e32 v0, 4, v0
	s_waitcnt lgkmcnt(0)
	s_add_u32 s0, s0, s2
	s_addc_u32 s1, s1, s3
	s_delay_alu instid0(VALU_DEP_1) | instskip(NEXT) | instid1(VALU_DEP_1)
	v_add_co_u32 v33, s2, s0, v0
	v_add_co_ci_u32_e64 v34, null, s1, 0, s2
	s_delay_alu instid0(VALU_DEP_2) | instskip(NEXT) | instid1(VALU_DEP_2)
	v_add_co_u32 v29, vcc_lo, v33, 0x2000
	v_add_co_ci_u32_e32 v30, vcc_lo, 0, v34, vcc_lo
	v_add_co_u32 v31, vcc_lo, v33, 0x4000
	v_add_co_ci_u32_e32 v32, vcc_lo, 0, v34, vcc_lo
	;; [unrolled: 2-line block ×3, first 2 shown]
	s_clause 0x6
	global_store_b128 v0, v[13:16], s[0:1]
	global_store_b128 v[29:30], v[9:12], off offset:-4096
	global_store_b128 v[29:30], v[5:8], off
	global_store_b128 v[31:32], v[1:4], off offset:-4096
	global_store_b128 v[31:32], v[25:28], off
	;; [unrolled: 2-line block ×3, first 2 shown]
	s_nop 0
	s_sendmsg sendmsg(MSG_DEALLOC_VGPRS)
	s_endpgm
	.section	.rodata,"a",@progbits
	.p2align	6, 0x0
	.amdhsa_kernel _Z6kernelI18blocked_to_stripedN15benchmark_utils11custom_typeIddEELj256ELj7ELj100EEvPKT0_PKjPS4_
		.amdhsa_group_segment_fixed_size 28672
		.amdhsa_private_segment_fixed_size 0
		.amdhsa_kernarg_size 24
		.amdhsa_user_sgpr_count 15
		.amdhsa_user_sgpr_dispatch_ptr 0
		.amdhsa_user_sgpr_queue_ptr 0
		.amdhsa_user_sgpr_kernarg_segment_ptr 1
		.amdhsa_user_sgpr_dispatch_id 0
		.amdhsa_user_sgpr_private_segment_size 0
		.amdhsa_wavefront_size32 1
		.amdhsa_uses_dynamic_stack 0
		.amdhsa_enable_private_segment 0
		.amdhsa_system_sgpr_workgroup_id_x 1
		.amdhsa_system_sgpr_workgroup_id_y 0
		.amdhsa_system_sgpr_workgroup_id_z 0
		.amdhsa_system_sgpr_workgroup_info 0
		.amdhsa_system_vgpr_workitem_id 0
		.amdhsa_next_free_vgpr 35
		.amdhsa_next_free_sgpr 16
		.amdhsa_reserve_vcc 1
		.amdhsa_float_round_mode_32 0
		.amdhsa_float_round_mode_16_64 0
		.amdhsa_float_denorm_mode_32 3
		.amdhsa_float_denorm_mode_16_64 3
		.amdhsa_dx10_clamp 1
		.amdhsa_ieee_mode 1
		.amdhsa_fp16_overflow 0
		.amdhsa_workgroup_processor_mode 1
		.amdhsa_memory_ordered 1
		.amdhsa_forward_progress 0
		.amdhsa_shared_vgpr_count 0
		.amdhsa_exception_fp_ieee_invalid_op 0
		.amdhsa_exception_fp_denorm_src 0
		.amdhsa_exception_fp_ieee_div_zero 0
		.amdhsa_exception_fp_ieee_overflow 0
		.amdhsa_exception_fp_ieee_underflow 0
		.amdhsa_exception_fp_ieee_inexact 0
		.amdhsa_exception_int_div_zero 0
	.end_amdhsa_kernel
	.section	.text._Z6kernelI18blocked_to_stripedN15benchmark_utils11custom_typeIddEELj256ELj7ELj100EEvPKT0_PKjPS4_,"axG",@progbits,_Z6kernelI18blocked_to_stripedN15benchmark_utils11custom_typeIddEELj256ELj7ELj100EEvPKT0_PKjPS4_,comdat
.Lfunc_end28:
	.size	_Z6kernelI18blocked_to_stripedN15benchmark_utils11custom_typeIddEELj256ELj7ELj100EEvPKT0_PKjPS4_, .Lfunc_end28-_Z6kernelI18blocked_to_stripedN15benchmark_utils11custom_typeIddEELj256ELj7ELj100EEvPKT0_PKjPS4_
                                        ; -- End function
	.section	.AMDGPU.csdata,"",@progbits
; Kernel info:
; codeLenInByte = 464
; NumSgprs: 18
; NumVgprs: 35
; ScratchSize: 0
; MemoryBound: 1
; FloatMode: 240
; IeeeMode: 1
; LDSByteSize: 28672 bytes/workgroup (compile time only)
; SGPRBlocks: 2
; VGPRBlocks: 4
; NumSGPRsForWavesPerEU: 18
; NumVGPRsForWavesPerEU: 35
; Occupancy: 8
; WaveLimiterHint : 1
; COMPUTE_PGM_RSRC2:SCRATCH_EN: 0
; COMPUTE_PGM_RSRC2:USER_SGPR: 15
; COMPUTE_PGM_RSRC2:TRAP_HANDLER: 0
; COMPUTE_PGM_RSRC2:TGID_X_EN: 1
; COMPUTE_PGM_RSRC2:TGID_Y_EN: 0
; COMPUTE_PGM_RSRC2:TGID_Z_EN: 0
; COMPUTE_PGM_RSRC2:TIDIG_COMP_CNT: 0
	.section	.text._Z6kernelI18blocked_to_stripedN15benchmark_utils11custom_typeIddEELj256ELj8ELj100EEvPKT0_PKjPS4_,"axG",@progbits,_Z6kernelI18blocked_to_stripedN15benchmark_utils11custom_typeIddEELj256ELj8ELj100EEvPKT0_PKjPS4_,comdat
	.protected	_Z6kernelI18blocked_to_stripedN15benchmark_utils11custom_typeIddEELj256ELj8ELj100EEvPKT0_PKjPS4_ ; -- Begin function _Z6kernelI18blocked_to_stripedN15benchmark_utils11custom_typeIddEELj256ELj8ELj100EEvPKT0_PKjPS4_
	.globl	_Z6kernelI18blocked_to_stripedN15benchmark_utils11custom_typeIddEELj256ELj8ELj100EEvPKT0_PKjPS4_
	.p2align	8
	.type	_Z6kernelI18blocked_to_stripedN15benchmark_utils11custom_typeIddEELj256ELj8ELj100EEvPKT0_PKjPS4_,@function
_Z6kernelI18blocked_to_stripedN15benchmark_utils11custom_typeIddEELj256ELj8ELj100EEvPKT0_PKjPS4_: ; @_Z6kernelI18blocked_to_stripedN15benchmark_utils11custom_typeIddEELj256ELj8ELj100EEvPKT0_PKjPS4_
; %bb.0:
	s_load_b64 s[4:5], s[0:1], 0x0
	s_mov_b32 s3, 0
	s_lshl_b32 s2, s15, 11
	v_lshlrev_b32_e32 v33, 7, v0
	s_lshl_b64 s[2:3], s[2:3], 4
	v_lshlrev_b32_e32 v34, 2, v0
	v_lshrrev_b32_e32 v37, 5, v0
	v_or_b32_e32 v35, 0x100, v0
	v_or_b32_e32 v36, 0x200, v0
	;; [unrolled: 1-line block ×3, first 2 shown]
	v_and_b32_e32 v34, 0x3f0, v34
	v_or_b32_e32 v39, 0x500, v0
	v_or_b32_e32 v40, 0x600, v0
	;; [unrolled: 1-line block ×3, first 2 shown]
	v_lshrrev_b32_e32 v35, 5, v35
	v_lshrrev_b32_e32 v36, 5, v36
	;; [unrolled: 1-line block ×6, first 2 shown]
	s_waitcnt lgkmcnt(0)
	s_add_u32 s4, s4, s2
	s_addc_u32 s5, s5, s3
	v_add_lshl_u32 v35, v35, v0, 4
	s_clause 0x7
	global_load_b128 v[1:4], v33, s[4:5] offset:48
	global_load_b128 v[5:8], v33, s[4:5] offset:32
	;; [unrolled: 1-line block ×3, first 2 shown]
	global_load_b128 v[9:12], v33, s[4:5]
	global_load_b128 v[17:20], v33, s[4:5] offset:112
	global_load_b128 v[21:24], v33, s[4:5] offset:96
	;; [unrolled: 1-line block ×4, first 2 shown]
	v_add_nc_u32_e32 v33, v34, v33
	v_add_lshl_u32 v34, v37, v0, 4
	v_or_b32_e32 v37, 0x300, v0
	v_add_lshl_u32 v36, v36, v0, 4
	v_add_lshl_u32 v38, v38, v0, 4
	;; [unrolled: 1-line block ×4, first 2 shown]
	v_lshrrev_b32_e32 v37, 5, v37
	v_add_lshl_u32 v41, v41, v0, 4
	s_movk_i32 s4, 0x64
	s_delay_alu instid0(VALU_DEP_2)
	v_add_lshl_u32 v37, v37, v0, 4
	s_set_inst_prefetch_distance 0x1
	.p2align	6
.LBB29_1:                               ; =>This Inner Loop Header: Depth=1
	s_waitcnt vmcnt(4)
	ds_store_b128 v33, v[9:12]
	ds_store_b128 v33, v[13:16] offset:16
	ds_store_b128 v33, v[5:8] offset:32
	;; [unrolled: 1-line block ×3, first 2 shown]
	s_waitcnt vmcnt(0)
	ds_store_b128 v33, v[29:32] offset:64
	ds_store_b128 v33, v[25:28] offset:80
	;; [unrolled: 1-line block ×4, first 2 shown]
	s_waitcnt lgkmcnt(0)
	s_barrier
	buffer_gl0_inv
	ds_load_b128 v[9:12], v34
	ds_load_b128 v[13:16], v35 offset:4096
	ds_load_b128 v[5:8], v36 offset:8192
	;; [unrolled: 1-line block ×7, first 2 shown]
	s_add_i32 s4, s4, -1
	s_waitcnt lgkmcnt(0)
	s_cmp_lg_u32 s4, 0
	s_barrier
	buffer_gl0_inv
	s_cbranch_scc1 .LBB29_1
; %bb.2:
	s_set_inst_prefetch_distance 0x2
	s_load_b64 s[0:1], s[0:1], 0x10
	v_lshlrev_b32_e32 v0, 4, v0
	s_waitcnt lgkmcnt(0)
	s_add_u32 s0, s0, s2
	s_addc_u32 s1, s1, s3
	s_delay_alu instid0(VALU_DEP_1) | instskip(NEXT) | instid1(VALU_DEP_1)
	v_add_co_u32 v39, s2, s0, v0
	v_add_co_ci_u32_e64 v40, null, s1, 0, s2
	s_delay_alu instid0(VALU_DEP_2) | instskip(NEXT) | instid1(VALU_DEP_2)
	v_add_co_u32 v33, vcc_lo, v39, 0x2000
	v_add_co_ci_u32_e32 v34, vcc_lo, 0, v40, vcc_lo
	v_add_co_u32 v35, vcc_lo, v39, 0x4000
	v_add_co_ci_u32_e32 v36, vcc_lo, 0, v40, vcc_lo
	;; [unrolled: 2-line block ×4, first 2 shown]
	s_clause 0x7
	global_store_b128 v[33:34], v[13:16], off offset:-4096
	global_store_b128 v[33:34], v[5:8], off
	global_store_b128 v[35:36], v[1:4], off offset:-4096
	global_store_b128 v[35:36], v[29:32], off
	;; [unrolled: 2-line block ×3, first 2 shown]
	global_store_b128 v0, v[9:12], s[0:1]
	global_store_b128 v[39:40], v[17:20], off
	s_nop 0
	s_sendmsg sendmsg(MSG_DEALLOC_VGPRS)
	s_endpgm
	.section	.rodata,"a",@progbits
	.p2align	6, 0x0
	.amdhsa_kernel _Z6kernelI18blocked_to_stripedN15benchmark_utils11custom_typeIddEELj256ELj8ELj100EEvPKT0_PKjPS4_
		.amdhsa_group_segment_fixed_size 33792
		.amdhsa_private_segment_fixed_size 0
		.amdhsa_kernarg_size 24
		.amdhsa_user_sgpr_count 15
		.amdhsa_user_sgpr_dispatch_ptr 0
		.amdhsa_user_sgpr_queue_ptr 0
		.amdhsa_user_sgpr_kernarg_segment_ptr 1
		.amdhsa_user_sgpr_dispatch_id 0
		.amdhsa_user_sgpr_private_segment_size 0
		.amdhsa_wavefront_size32 1
		.amdhsa_uses_dynamic_stack 0
		.amdhsa_enable_private_segment 0
		.amdhsa_system_sgpr_workgroup_id_x 1
		.amdhsa_system_sgpr_workgroup_id_y 0
		.amdhsa_system_sgpr_workgroup_id_z 0
		.amdhsa_system_sgpr_workgroup_info 0
		.amdhsa_system_vgpr_workitem_id 0
		.amdhsa_next_free_vgpr 42
		.amdhsa_next_free_sgpr 16
		.amdhsa_reserve_vcc 1
		.amdhsa_float_round_mode_32 0
		.amdhsa_float_round_mode_16_64 0
		.amdhsa_float_denorm_mode_32 3
		.amdhsa_float_denorm_mode_16_64 3
		.amdhsa_dx10_clamp 1
		.amdhsa_ieee_mode 1
		.amdhsa_fp16_overflow 0
		.amdhsa_workgroup_processor_mode 1
		.amdhsa_memory_ordered 1
		.amdhsa_forward_progress 0
		.amdhsa_shared_vgpr_count 0
		.amdhsa_exception_fp_ieee_invalid_op 0
		.amdhsa_exception_fp_denorm_src 0
		.amdhsa_exception_fp_ieee_div_zero 0
		.amdhsa_exception_fp_ieee_overflow 0
		.amdhsa_exception_fp_ieee_underflow 0
		.amdhsa_exception_fp_ieee_inexact 0
		.amdhsa_exception_int_div_zero 0
	.end_amdhsa_kernel
	.section	.text._Z6kernelI18blocked_to_stripedN15benchmark_utils11custom_typeIddEELj256ELj8ELj100EEvPKT0_PKjPS4_,"axG",@progbits,_Z6kernelI18blocked_to_stripedN15benchmark_utils11custom_typeIddEELj256ELj8ELj100EEvPKT0_PKjPS4_,comdat
.Lfunc_end29:
	.size	_Z6kernelI18blocked_to_stripedN15benchmark_utils11custom_typeIddEELj256ELj8ELj100EEvPKT0_PKjPS4_, .Lfunc_end29-_Z6kernelI18blocked_to_stripedN15benchmark_utils11custom_typeIddEELj256ELj8ELj100EEvPKT0_PKjPS4_
                                        ; -- End function
	.section	.AMDGPU.csdata,"",@progbits
; Kernel info:
; codeLenInByte = 660
; NumSgprs: 18
; NumVgprs: 42
; ScratchSize: 0
; MemoryBound: 0
; FloatMode: 240
; IeeeMode: 1
; LDSByteSize: 33792 bytes/workgroup (compile time only)
; SGPRBlocks: 2
; VGPRBlocks: 5
; NumSGPRsForWavesPerEU: 18
; NumVGPRsForWavesPerEU: 42
; Occupancy: 6
; WaveLimiterHint : 1
; COMPUTE_PGM_RSRC2:SCRATCH_EN: 0
; COMPUTE_PGM_RSRC2:USER_SGPR: 15
; COMPUTE_PGM_RSRC2:TRAP_HANDLER: 0
; COMPUTE_PGM_RSRC2:TGID_X_EN: 1
; COMPUTE_PGM_RSRC2:TGID_Y_EN: 0
; COMPUTE_PGM_RSRC2:TGID_Z_EN: 0
; COMPUTE_PGM_RSRC2:TIDIG_COMP_CNT: 0
	.section	.text._Z6kernelI18striped_to_blockediLj256ELj1ELj100EEvPKT0_PKjPS1_,"axG",@progbits,_Z6kernelI18striped_to_blockediLj256ELj1ELj100EEvPKT0_PKjPS1_,comdat
	.protected	_Z6kernelI18striped_to_blockediLj256ELj1ELj100EEvPKT0_PKjPS1_ ; -- Begin function _Z6kernelI18striped_to_blockediLj256ELj1ELj100EEvPKT0_PKjPS1_
	.globl	_Z6kernelI18striped_to_blockediLj256ELj1ELj100EEvPKT0_PKjPS1_
	.p2align	8
	.type	_Z6kernelI18striped_to_blockediLj256ELj1ELj100EEvPKT0_PKjPS1_,@function
_Z6kernelI18striped_to_blockediLj256ELj1ELj100EEvPKT0_PKjPS1_: ; @_Z6kernelI18striped_to_blockediLj256ELj1ELj100EEvPKT0_PKjPS1_
; %bb.0:
	s_load_b64 s[4:5], s[0:1], 0x0
	s_lshl_b32 s2, s15, 8
	s_mov_b32 s3, 0
	v_lshlrev_b32_e32 v2, 2, v0
	s_lshl_b64 s[2:3], s[2:3], 2
	s_waitcnt lgkmcnt(0)
	s_add_u32 s4, s4, s2
	s_addc_u32 s5, s5, s3
	global_load_b32 v1, v2, s[4:5]
	s_movk_i32 s4, 0x64
.LBB30_1:                               ; =>This Inner Loop Header: Depth=1
	s_waitcnt vmcnt(0)
	ds_store_b32 v2, v1
	s_waitcnt lgkmcnt(0)
	s_barrier
	buffer_gl0_inv
	ds_load_b32 v1, v2
	s_add_i32 s4, s4, -1
	s_waitcnt lgkmcnt(0)
	s_cmp_lg_u32 s4, 0
	s_barrier
	buffer_gl0_inv
	s_cbranch_scc1 .LBB30_1
; %bb.2:
	s_load_b64 s[0:1], s[0:1], 0x10
	v_lshlrev_b32_e32 v0, 2, v0
	s_waitcnt lgkmcnt(0)
	s_add_u32 s0, s0, s2
	s_addc_u32 s1, s1, s3
	global_store_b32 v0, v1, s[0:1]
	s_nop 0
	s_sendmsg sendmsg(MSG_DEALLOC_VGPRS)
	s_endpgm
	.section	.rodata,"a",@progbits
	.p2align	6, 0x0
	.amdhsa_kernel _Z6kernelI18striped_to_blockediLj256ELj1ELj100EEvPKT0_PKjPS1_
		.amdhsa_group_segment_fixed_size 1024
		.amdhsa_private_segment_fixed_size 0
		.amdhsa_kernarg_size 24
		.amdhsa_user_sgpr_count 15
		.amdhsa_user_sgpr_dispatch_ptr 0
		.amdhsa_user_sgpr_queue_ptr 0
		.amdhsa_user_sgpr_kernarg_segment_ptr 1
		.amdhsa_user_sgpr_dispatch_id 0
		.amdhsa_user_sgpr_private_segment_size 0
		.amdhsa_wavefront_size32 1
		.amdhsa_uses_dynamic_stack 0
		.amdhsa_enable_private_segment 0
		.amdhsa_system_sgpr_workgroup_id_x 1
		.amdhsa_system_sgpr_workgroup_id_y 0
		.amdhsa_system_sgpr_workgroup_id_z 0
		.amdhsa_system_sgpr_workgroup_info 0
		.amdhsa_system_vgpr_workitem_id 0
		.amdhsa_next_free_vgpr 3
		.amdhsa_next_free_sgpr 16
		.amdhsa_reserve_vcc 0
		.amdhsa_float_round_mode_32 0
		.amdhsa_float_round_mode_16_64 0
		.amdhsa_float_denorm_mode_32 3
		.amdhsa_float_denorm_mode_16_64 3
		.amdhsa_dx10_clamp 1
		.amdhsa_ieee_mode 1
		.amdhsa_fp16_overflow 0
		.amdhsa_workgroup_processor_mode 1
		.amdhsa_memory_ordered 1
		.amdhsa_forward_progress 0
		.amdhsa_shared_vgpr_count 0
		.amdhsa_exception_fp_ieee_invalid_op 0
		.amdhsa_exception_fp_denorm_src 0
		.amdhsa_exception_fp_ieee_div_zero 0
		.amdhsa_exception_fp_ieee_overflow 0
		.amdhsa_exception_fp_ieee_underflow 0
		.amdhsa_exception_fp_ieee_inexact 0
		.amdhsa_exception_int_div_zero 0
	.end_amdhsa_kernel
	.section	.text._Z6kernelI18striped_to_blockediLj256ELj1ELj100EEvPKT0_PKjPS1_,"axG",@progbits,_Z6kernelI18striped_to_blockediLj256ELj1ELj100EEvPKT0_PKjPS1_,comdat
.Lfunc_end30:
	.size	_Z6kernelI18striped_to_blockediLj256ELj1ELj100EEvPKT0_PKjPS1_, .Lfunc_end30-_Z6kernelI18striped_to_blockediLj256ELj1ELj100EEvPKT0_PKjPS1_
                                        ; -- End function
	.section	.AMDGPU.csdata,"",@progbits
; Kernel info:
; codeLenInByte = 156
; NumSgprs: 16
; NumVgprs: 3
; ScratchSize: 0
; MemoryBound: 0
; FloatMode: 240
; IeeeMode: 1
; LDSByteSize: 1024 bytes/workgroup (compile time only)
; SGPRBlocks: 1
; VGPRBlocks: 0
; NumSGPRsForWavesPerEU: 16
; NumVGPRsForWavesPerEU: 3
; Occupancy: 16
; WaveLimiterHint : 0
; COMPUTE_PGM_RSRC2:SCRATCH_EN: 0
; COMPUTE_PGM_RSRC2:USER_SGPR: 15
; COMPUTE_PGM_RSRC2:TRAP_HANDLER: 0
; COMPUTE_PGM_RSRC2:TGID_X_EN: 1
; COMPUTE_PGM_RSRC2:TGID_Y_EN: 0
; COMPUTE_PGM_RSRC2:TGID_Z_EN: 0
; COMPUTE_PGM_RSRC2:TIDIG_COMP_CNT: 0
	.section	.text._Z6kernelI18striped_to_blockediLj256ELj2ELj100EEvPKT0_PKjPS1_,"axG",@progbits,_Z6kernelI18striped_to_blockediLj256ELj2ELj100EEvPKT0_PKjPS1_,comdat
	.protected	_Z6kernelI18striped_to_blockediLj256ELj2ELj100EEvPKT0_PKjPS1_ ; -- Begin function _Z6kernelI18striped_to_blockediLj256ELj2ELj100EEvPKT0_PKjPS1_
	.globl	_Z6kernelI18striped_to_blockediLj256ELj2ELj100EEvPKT0_PKjPS1_
	.p2align	8
	.type	_Z6kernelI18striped_to_blockediLj256ELj2ELj100EEvPKT0_PKjPS1_,@function
_Z6kernelI18striped_to_blockediLj256ELj2ELj100EEvPKT0_PKjPS1_: ; @_Z6kernelI18striped_to_blockediLj256ELj2ELj100EEvPKT0_PKjPS1_
; %bb.0:
	s_load_b64 s[4:5], s[0:1], 0x0
	s_mov_b32 s3, 0
	s_lshl_b32 s2, s15, 9
	v_lshlrev_b32_e32 v4, 2, v0
	s_lshl_b64 s[2:3], s[2:3], 2
	v_or_b32_e32 v3, 0x100, v0
	v_lshrrev_b32_e32 v5, 3, v0
	v_lshrrev_b32_e32 v7, 4, v0
	s_delay_alu instid0(VALU_DEP_3) | instskip(NEXT) | instid1(VALU_DEP_3)
	v_lshrrev_b32_e32 v3, 3, v3
	v_and_b32_e32 v5, 28, v5
	s_delay_alu instid0(VALU_DEP_2) | instskip(SKIP_1) | instid1(VALU_DEP_3)
	v_and_b32_e32 v6, 60, v3
	v_lshlrev_b32_e32 v3, 1, v0
	v_add_nc_u32_e32 v0, v5, v4
	s_waitcnt lgkmcnt(0)
	s_add_u32 s4, s4, s2
	s_addc_u32 s5, s5, s3
	v_add_lshl_u32 v5, v7, v3, 2
	s_clause 0x1
	global_load_b32 v1, v4, s[4:5]
	global_load_b32 v2, v4, s[4:5] offset:1024
	v_add_nc_u32_e32 v4, v6, v4
	s_movk_i32 s4, 0x64
.LBB31_1:                               ; =>This Inner Loop Header: Depth=1
	s_waitcnt vmcnt(1)
	ds_store_b32 v0, v1
	s_waitcnt vmcnt(0)
	ds_store_b32 v4, v2 offset:1024
	s_waitcnt lgkmcnt(0)
	s_barrier
	buffer_gl0_inv
	ds_load_2addr_b32 v[1:2], v5 offset1:1
	s_add_i32 s4, s4, -1
	s_waitcnt lgkmcnt(0)
	s_cmp_lg_u32 s4, 0
	s_barrier
	buffer_gl0_inv
	s_cbranch_scc1 .LBB31_1
; %bb.2:
	s_load_b64 s[0:1], s[0:1], 0x10
	v_lshlrev_b32_e32 v0, 2, v3
	s_waitcnt lgkmcnt(0)
	s_add_u32 s0, s0, s2
	s_addc_u32 s1, s1, s3
	global_store_b64 v0, v[1:2], s[0:1]
	s_nop 0
	s_sendmsg sendmsg(MSG_DEALLOC_VGPRS)
	s_endpgm
	.section	.rodata,"a",@progbits
	.p2align	6, 0x0
	.amdhsa_kernel _Z6kernelI18striped_to_blockediLj256ELj2ELj100EEvPKT0_PKjPS1_
		.amdhsa_group_segment_fixed_size 2112
		.amdhsa_private_segment_fixed_size 0
		.amdhsa_kernarg_size 24
		.amdhsa_user_sgpr_count 15
		.amdhsa_user_sgpr_dispatch_ptr 0
		.amdhsa_user_sgpr_queue_ptr 0
		.amdhsa_user_sgpr_kernarg_segment_ptr 1
		.amdhsa_user_sgpr_dispatch_id 0
		.amdhsa_user_sgpr_private_segment_size 0
		.amdhsa_wavefront_size32 1
		.amdhsa_uses_dynamic_stack 0
		.amdhsa_enable_private_segment 0
		.amdhsa_system_sgpr_workgroup_id_x 1
		.amdhsa_system_sgpr_workgroup_id_y 0
		.amdhsa_system_sgpr_workgroup_id_z 0
		.amdhsa_system_sgpr_workgroup_info 0
		.amdhsa_system_vgpr_workitem_id 0
		.amdhsa_next_free_vgpr 8
		.amdhsa_next_free_sgpr 16
		.amdhsa_reserve_vcc 0
		.amdhsa_float_round_mode_32 0
		.amdhsa_float_round_mode_16_64 0
		.amdhsa_float_denorm_mode_32 3
		.amdhsa_float_denorm_mode_16_64 3
		.amdhsa_dx10_clamp 1
		.amdhsa_ieee_mode 1
		.amdhsa_fp16_overflow 0
		.amdhsa_workgroup_processor_mode 1
		.amdhsa_memory_ordered 1
		.amdhsa_forward_progress 0
		.amdhsa_shared_vgpr_count 0
		.amdhsa_exception_fp_ieee_invalid_op 0
		.amdhsa_exception_fp_denorm_src 0
		.amdhsa_exception_fp_ieee_div_zero 0
		.amdhsa_exception_fp_ieee_overflow 0
		.amdhsa_exception_fp_ieee_underflow 0
		.amdhsa_exception_fp_ieee_inexact 0
		.amdhsa_exception_int_div_zero 0
	.end_amdhsa_kernel
	.section	.text._Z6kernelI18striped_to_blockediLj256ELj2ELj100EEvPKT0_PKjPS1_,"axG",@progbits,_Z6kernelI18striped_to_blockediLj256ELj2ELj100EEvPKT0_PKjPS1_,comdat
.Lfunc_end31:
	.size	_Z6kernelI18striped_to_blockediLj256ELj2ELj100EEvPKT0_PKjPS1_, .Lfunc_end31-_Z6kernelI18striped_to_blockediLj256ELj2ELj100EEvPKT0_PKjPS1_
                                        ; -- End function
	.section	.AMDGPU.csdata,"",@progbits
; Kernel info:
; codeLenInByte = 236
; NumSgprs: 16
; NumVgprs: 8
; ScratchSize: 0
; MemoryBound: 0
; FloatMode: 240
; IeeeMode: 1
; LDSByteSize: 2112 bytes/workgroup (compile time only)
; SGPRBlocks: 1
; VGPRBlocks: 0
; NumSGPRsForWavesPerEU: 16
; NumVGPRsForWavesPerEU: 8
; Occupancy: 16
; WaveLimiterHint : 1
; COMPUTE_PGM_RSRC2:SCRATCH_EN: 0
; COMPUTE_PGM_RSRC2:USER_SGPR: 15
; COMPUTE_PGM_RSRC2:TRAP_HANDLER: 0
; COMPUTE_PGM_RSRC2:TGID_X_EN: 1
; COMPUTE_PGM_RSRC2:TGID_Y_EN: 0
; COMPUTE_PGM_RSRC2:TGID_Z_EN: 0
; COMPUTE_PGM_RSRC2:TIDIG_COMP_CNT: 0
	.section	.text._Z6kernelI18striped_to_blockediLj256ELj3ELj100EEvPKT0_PKjPS1_,"axG",@progbits,_Z6kernelI18striped_to_blockediLj256ELj3ELj100EEvPKT0_PKjPS1_,comdat
	.protected	_Z6kernelI18striped_to_blockediLj256ELj3ELj100EEvPKT0_PKjPS1_ ; -- Begin function _Z6kernelI18striped_to_blockediLj256ELj3ELj100EEvPKT0_PKjPS1_
	.globl	_Z6kernelI18striped_to_blockediLj256ELj3ELj100EEvPKT0_PKjPS1_
	.p2align	8
	.type	_Z6kernelI18striped_to_blockediLj256ELj3ELj100EEvPKT0_PKjPS1_,@function
_Z6kernelI18striped_to_blockediLj256ELj3ELj100EEvPKT0_PKjPS1_: ; @_Z6kernelI18striped_to_blockediLj256ELj3ELj100EEvPKT0_PKjPS1_
; %bb.0:
	s_load_b64 s[4:5], s[0:1], 0x0
	s_mov_b32 s3, 0
	s_mul_i32 s2, s15, 0x300
	v_lshlrev_b32_e32 v4, 2, v0
	s_lshl_b64 s[2:3], s[2:3], 2
	v_lshlrev_b32_e32 v5, 3, v0
	s_delay_alu instid0(VALU_DEP_1)
	v_add_nc_u32_e32 v5, v4, v5
	s_waitcnt lgkmcnt(0)
	s_add_u32 s4, s4, s2
	s_addc_u32 s5, s5, s3
	s_clause 0x2
	global_load_b32 v1, v4, s[4:5]
	global_load_b32 v2, v4, s[4:5] offset:1024
	global_load_b32 v3, v4, s[4:5] offset:2048
	s_movk_i32 s4, 0x64
.LBB32_1:                               ; =>This Inner Loop Header: Depth=1
	s_waitcnt vmcnt(1)
	ds_store_2addr_stride64_b32 v4, v1, v2 offset1:4
	s_waitcnt vmcnt(0)
	ds_store_b32 v4, v3 offset:2048
	s_waitcnt lgkmcnt(0)
	s_barrier
	buffer_gl0_inv
	ds_load_2addr_b32 v[1:2], v5 offset1:1
	ds_load_b32 v3, v5 offset:8
	s_add_i32 s4, s4, -1
	s_waitcnt lgkmcnt(0)
	s_cmp_lg_u32 s4, 0
	s_barrier
	buffer_gl0_inv
	s_cbranch_scc1 .LBB32_1
; %bb.2:
	s_load_b64 s[0:1], s[0:1], 0x10
	v_mul_u32_u24_e32 v0, 3, v0
	s_delay_alu instid0(VALU_DEP_1)
	v_lshlrev_b32_e32 v0, 2, v0
	s_waitcnt lgkmcnt(0)
	s_add_u32 s0, s0, s2
	s_addc_u32 s1, s1, s3
	global_store_b96 v0, v[1:3], s[0:1]
	s_nop 0
	s_sendmsg sendmsg(MSG_DEALLOC_VGPRS)
	s_endpgm
	.section	.rodata,"a",@progbits
	.p2align	6, 0x0
	.amdhsa_kernel _Z6kernelI18striped_to_blockediLj256ELj3ELj100EEvPKT0_PKjPS1_
		.amdhsa_group_segment_fixed_size 3072
		.amdhsa_private_segment_fixed_size 0
		.amdhsa_kernarg_size 24
		.amdhsa_user_sgpr_count 15
		.amdhsa_user_sgpr_dispatch_ptr 0
		.amdhsa_user_sgpr_queue_ptr 0
		.amdhsa_user_sgpr_kernarg_segment_ptr 1
		.amdhsa_user_sgpr_dispatch_id 0
		.amdhsa_user_sgpr_private_segment_size 0
		.amdhsa_wavefront_size32 1
		.amdhsa_uses_dynamic_stack 0
		.amdhsa_enable_private_segment 0
		.amdhsa_system_sgpr_workgroup_id_x 1
		.amdhsa_system_sgpr_workgroup_id_y 0
		.amdhsa_system_sgpr_workgroup_id_z 0
		.amdhsa_system_sgpr_workgroup_info 0
		.amdhsa_system_vgpr_workitem_id 0
		.amdhsa_next_free_vgpr 6
		.amdhsa_next_free_sgpr 16
		.amdhsa_reserve_vcc 0
		.amdhsa_float_round_mode_32 0
		.amdhsa_float_round_mode_16_64 0
		.amdhsa_float_denorm_mode_32 3
		.amdhsa_float_denorm_mode_16_64 3
		.amdhsa_dx10_clamp 1
		.amdhsa_ieee_mode 1
		.amdhsa_fp16_overflow 0
		.amdhsa_workgroup_processor_mode 1
		.amdhsa_memory_ordered 1
		.amdhsa_forward_progress 0
		.amdhsa_shared_vgpr_count 0
		.amdhsa_exception_fp_ieee_invalid_op 0
		.amdhsa_exception_fp_denorm_src 0
		.amdhsa_exception_fp_ieee_div_zero 0
		.amdhsa_exception_fp_ieee_overflow 0
		.amdhsa_exception_fp_ieee_underflow 0
		.amdhsa_exception_fp_ieee_inexact 0
		.amdhsa_exception_int_div_zero 0
	.end_amdhsa_kernel
	.section	.text._Z6kernelI18striped_to_blockediLj256ELj3ELj100EEvPKT0_PKjPS1_,"axG",@progbits,_Z6kernelI18striped_to_blockediLj256ELj3ELj100EEvPKT0_PKjPS1_,comdat
.Lfunc_end32:
	.size	_Z6kernelI18striped_to_blockediLj256ELj3ELj100EEvPKT0_PKjPS1_, .Lfunc_end32-_Z6kernelI18striped_to_blockediLj256ELj3ELj100EEvPKT0_PKjPS1_
                                        ; -- End function
	.section	.AMDGPU.csdata,"",@progbits
; Kernel info:
; codeLenInByte = 220
; NumSgprs: 16
; NumVgprs: 6
; ScratchSize: 0
; MemoryBound: 0
; FloatMode: 240
; IeeeMode: 1
; LDSByteSize: 3072 bytes/workgroup (compile time only)
; SGPRBlocks: 1
; VGPRBlocks: 0
; NumSGPRsForWavesPerEU: 16
; NumVGPRsForWavesPerEU: 6
; Occupancy: 16
; WaveLimiterHint : 1
; COMPUTE_PGM_RSRC2:SCRATCH_EN: 0
; COMPUTE_PGM_RSRC2:USER_SGPR: 15
; COMPUTE_PGM_RSRC2:TRAP_HANDLER: 0
; COMPUTE_PGM_RSRC2:TGID_X_EN: 1
; COMPUTE_PGM_RSRC2:TGID_Y_EN: 0
; COMPUTE_PGM_RSRC2:TGID_Z_EN: 0
; COMPUTE_PGM_RSRC2:TIDIG_COMP_CNT: 0
	.section	.text._Z6kernelI18striped_to_blockediLj256ELj4ELj100EEvPKT0_PKjPS1_,"axG",@progbits,_Z6kernelI18striped_to_blockediLj256ELj4ELj100EEvPKT0_PKjPS1_,comdat
	.protected	_Z6kernelI18striped_to_blockediLj256ELj4ELj100EEvPKT0_PKjPS1_ ; -- Begin function _Z6kernelI18striped_to_blockediLj256ELj4ELj100EEvPKT0_PKjPS1_
	.globl	_Z6kernelI18striped_to_blockediLj256ELj4ELj100EEvPKT0_PKjPS1_
	.p2align	8
	.type	_Z6kernelI18striped_to_blockediLj256ELj4ELj100EEvPKT0_PKjPS1_,@function
_Z6kernelI18striped_to_blockediLj256ELj4ELj100EEvPKT0_PKjPS1_: ; @_Z6kernelI18striped_to_blockediLj256ELj4ELj100EEvPKT0_PKjPS1_
; %bb.0:
	s_load_b64 s[4:5], s[0:1], 0x0
	s_mov_b32 s3, 0
	s_lshl_b32 s2, s15, 10
	v_lshlrev_b32_e32 v5, 2, v0
	s_lshl_b64 s[2:3], s[2:3], 2
	v_or_b32_e32 v6, 0x100, v0
	v_or_b32_e32 v7, 0x200, v0
	;; [unrolled: 1-line block ×3, first 2 shown]
	v_lshrrev_b32_e32 v9, 3, v0
	s_delay_alu instid0(VALU_DEP_4) | instskip(NEXT) | instid1(VALU_DEP_4)
	v_lshrrev_b32_e32 v0, 3, v6
	v_lshrrev_b32_e32 v6, 3, v7
	s_delay_alu instid0(VALU_DEP_4) | instskip(NEXT) | instid1(VALU_DEP_4)
	v_lshrrev_b32_e32 v7, 3, v8
	v_and_b32_e32 v8, 28, v9
	v_add_lshl_u32 v9, v9, v5, 2
	v_and_b32_e32 v10, 60, v0
	v_and_b32_e32 v11, 0x5c, v6
	;; [unrolled: 1-line block ×3, first 2 shown]
	v_add_nc_u32_e32 v0, v8, v5
	s_delay_alu instid0(VALU_DEP_4)
	v_add_nc_u32_e32 v6, v10, v5
	s_waitcnt lgkmcnt(0)
	s_add_u32 s4, s4, s2
	s_addc_u32 s5, s5, s3
	s_clause 0x3
	global_load_b32 v1, v5, s[4:5]
	global_load_b32 v2, v5, s[4:5] offset:1024
	global_load_b32 v3, v5, s[4:5] offset:2048
	;; [unrolled: 1-line block ×3, first 2 shown]
	v_add_nc_u32_e32 v7, v11, v5
	v_add_nc_u32_e32 v8, v12, v5
	s_movk_i32 s4, 0x64
	.p2align	6
.LBB33_1:                               ; =>This Inner Loop Header: Depth=1
	s_waitcnt vmcnt(3)
	ds_store_b32 v0, v1
	s_waitcnt vmcnt(2)
	ds_store_b32 v6, v2 offset:1024
	s_waitcnt vmcnt(1)
	ds_store_b32 v7, v3 offset:2048
	;; [unrolled: 2-line block ×3, first 2 shown]
	s_waitcnt lgkmcnt(0)
	s_barrier
	buffer_gl0_inv
	ds_load_2addr_b32 v[1:2], v9 offset1:1
	ds_load_2addr_b32 v[3:4], v9 offset0:2 offset1:3
	s_add_i32 s4, s4, -1
	s_waitcnt lgkmcnt(0)
	s_cmp_lg_u32 s4, 0
	s_barrier
	buffer_gl0_inv
	s_cbranch_scc1 .LBB33_1
; %bb.2:
	s_load_b64 s[0:1], s[0:1], 0x10
	v_lshlrev_b32_e32 v0, 2, v5
	s_waitcnt lgkmcnt(0)
	s_add_u32 s0, s0, s2
	s_addc_u32 s1, s1, s3
	global_store_b128 v0, v[1:4], s[0:1]
	s_nop 0
	s_sendmsg sendmsg(MSG_DEALLOC_VGPRS)
	s_endpgm
	.section	.rodata,"a",@progbits
	.p2align	6, 0x0
	.amdhsa_kernel _Z6kernelI18striped_to_blockediLj256ELj4ELj100EEvPKT0_PKjPS1_
		.amdhsa_group_segment_fixed_size 4224
		.amdhsa_private_segment_fixed_size 0
		.amdhsa_kernarg_size 24
		.amdhsa_user_sgpr_count 15
		.amdhsa_user_sgpr_dispatch_ptr 0
		.amdhsa_user_sgpr_queue_ptr 0
		.amdhsa_user_sgpr_kernarg_segment_ptr 1
		.amdhsa_user_sgpr_dispatch_id 0
		.amdhsa_user_sgpr_private_segment_size 0
		.amdhsa_wavefront_size32 1
		.amdhsa_uses_dynamic_stack 0
		.amdhsa_enable_private_segment 0
		.amdhsa_system_sgpr_workgroup_id_x 1
		.amdhsa_system_sgpr_workgroup_id_y 0
		.amdhsa_system_sgpr_workgroup_id_z 0
		.amdhsa_system_sgpr_workgroup_info 0
		.amdhsa_system_vgpr_workitem_id 0
		.amdhsa_next_free_vgpr 13
		.amdhsa_next_free_sgpr 16
		.amdhsa_reserve_vcc 0
		.amdhsa_float_round_mode_32 0
		.amdhsa_float_round_mode_16_64 0
		.amdhsa_float_denorm_mode_32 3
		.amdhsa_float_denorm_mode_16_64 3
		.amdhsa_dx10_clamp 1
		.amdhsa_ieee_mode 1
		.amdhsa_fp16_overflow 0
		.amdhsa_workgroup_processor_mode 1
		.amdhsa_memory_ordered 1
		.amdhsa_forward_progress 0
		.amdhsa_shared_vgpr_count 0
		.amdhsa_exception_fp_ieee_invalid_op 0
		.amdhsa_exception_fp_denorm_src 0
		.amdhsa_exception_fp_ieee_div_zero 0
		.amdhsa_exception_fp_ieee_overflow 0
		.amdhsa_exception_fp_ieee_underflow 0
		.amdhsa_exception_fp_ieee_inexact 0
		.amdhsa_exception_int_div_zero 0
	.end_amdhsa_kernel
	.section	.text._Z6kernelI18striped_to_blockediLj256ELj4ELj100EEvPKT0_PKjPS1_,"axG",@progbits,_Z6kernelI18striped_to_blockediLj256ELj4ELj100EEvPKT0_PKjPS1_,comdat
.Lfunc_end33:
	.size	_Z6kernelI18striped_to_blockediLj256ELj4ELj100EEvPKT0_PKjPS1_, .Lfunc_end33-_Z6kernelI18striped_to_blockediLj256ELj4ELj100EEvPKT0_PKjPS1_
                                        ; -- End function
	.section	.AMDGPU.csdata,"",@progbits
; Kernel info:
; codeLenInByte = 328
; NumSgprs: 16
; NumVgprs: 13
; ScratchSize: 0
; MemoryBound: 0
; FloatMode: 240
; IeeeMode: 1
; LDSByteSize: 4224 bytes/workgroup (compile time only)
; SGPRBlocks: 1
; VGPRBlocks: 1
; NumSGPRsForWavesPerEU: 16
; NumVGPRsForWavesPerEU: 13
; Occupancy: 16
; WaveLimiterHint : 1
; COMPUTE_PGM_RSRC2:SCRATCH_EN: 0
; COMPUTE_PGM_RSRC2:USER_SGPR: 15
; COMPUTE_PGM_RSRC2:TRAP_HANDLER: 0
; COMPUTE_PGM_RSRC2:TGID_X_EN: 1
; COMPUTE_PGM_RSRC2:TGID_Y_EN: 0
; COMPUTE_PGM_RSRC2:TGID_Z_EN: 0
; COMPUTE_PGM_RSRC2:TIDIG_COMP_CNT: 0
	.section	.text._Z6kernelI18striped_to_blockediLj256ELj7ELj100EEvPKT0_PKjPS1_,"axG",@progbits,_Z6kernelI18striped_to_blockediLj256ELj7ELj100EEvPKT0_PKjPS1_,comdat
	.protected	_Z6kernelI18striped_to_blockediLj256ELj7ELj100EEvPKT0_PKjPS1_ ; -- Begin function _Z6kernelI18striped_to_blockediLj256ELj7ELj100EEvPKT0_PKjPS1_
	.globl	_Z6kernelI18striped_to_blockediLj256ELj7ELj100EEvPKT0_PKjPS1_
	.p2align	8
	.type	_Z6kernelI18striped_to_blockediLj256ELj7ELj100EEvPKT0_PKjPS1_,@function
_Z6kernelI18striped_to_blockediLj256ELj7ELj100EEvPKT0_PKjPS1_: ; @_Z6kernelI18striped_to_blockediLj256ELj7ELj100EEvPKT0_PKjPS1_
; %bb.0:
	s_load_b64 s[4:5], s[0:1], 0x0
	s_mov_b32 s3, 0
	s_mul_i32 s2, s15, 0x700
	v_lshlrev_b32_e32 v8, 2, v0
	s_lshl_b64 s[2:3], s[2:3], 2
	s_waitcnt lgkmcnt(0)
	s_add_u32 s4, s4, s2
	s_addc_u32 s5, s5, s3
	v_add_co_u32 v1, s6, s4, v8
	s_delay_alu instid0(VALU_DEP_1) | instskip(NEXT) | instid1(VALU_DEP_2)
	v_add_co_ci_u32_e64 v2, null, s5, 0, s6
	v_add_co_u32 v9, vcc_lo, 0x1000, v1
	s_delay_alu instid0(VALU_DEP_2)
	v_add_co_ci_u32_e32 v10, vcc_lo, 0, v2, vcc_lo
	s_clause 0x6
	global_load_b32 v1, v8, s[4:5]
	global_load_b32 v2, v8, s[4:5] offset:1024
	global_load_b32 v3, v8, s[4:5] offset:2048
	;; [unrolled: 1-line block ×3, first 2 shown]
	global_load_b32 v5, v[9:10], off
	global_load_b32 v6, v[9:10], off offset:1024
	global_load_b32 v7, v[9:10], off offset:2048
	v_mul_u32_u24_e32 v9, 24, v0
	s_movk_i32 s4, 0x64
	s_delay_alu instid0(VALU_DEP_1)
	v_add_nc_u32_e32 v9, v8, v9
	.p2align	6
.LBB34_1:                               ; =>This Inner Loop Header: Depth=1
	s_waitcnt vmcnt(5)
	ds_store_2addr_stride64_b32 v8, v1, v2 offset1:4
	s_waitcnt vmcnt(3)
	ds_store_2addr_stride64_b32 v8, v3, v4 offset0:8 offset1:12
	s_waitcnt vmcnt(1)
	ds_store_2addr_stride64_b32 v8, v5, v6 offset0:16 offset1:20
	s_waitcnt vmcnt(0)
	ds_store_b32 v8, v7 offset:6144
	s_waitcnt lgkmcnt(0)
	s_barrier
	buffer_gl0_inv
	ds_load_2addr_b32 v[1:2], v9 offset1:1
	ds_load_2addr_b32 v[3:4], v9 offset0:2 offset1:3
	ds_load_2addr_b32 v[5:6], v9 offset0:4 offset1:5
	ds_load_b32 v7, v9 offset:24
	s_add_i32 s4, s4, -1
	s_waitcnt lgkmcnt(0)
	s_cmp_lg_u32 s4, 0
	s_barrier
	buffer_gl0_inv
	s_cbranch_scc1 .LBB34_1
; %bb.2:
	s_load_b64 s[0:1], s[0:1], 0x10
	v_mul_u32_u24_e32 v0, 7, v0
	s_delay_alu instid0(VALU_DEP_1)
	v_lshlrev_b32_e32 v0, 2, v0
	s_waitcnt lgkmcnt(0)
	s_add_u32 s0, s0, s2
	s_addc_u32 s1, s1, s3
	s_clause 0x1
	global_store_b128 v0, v[1:4], s[0:1]
	global_store_b96 v0, v[5:7], s[0:1] offset:16
	s_nop 0
	s_sendmsg sendmsg(MSG_DEALLOC_VGPRS)
	s_endpgm
	.section	.rodata,"a",@progbits
	.p2align	6, 0x0
	.amdhsa_kernel _Z6kernelI18striped_to_blockediLj256ELj7ELj100EEvPKT0_PKjPS1_
		.amdhsa_group_segment_fixed_size 7168
		.amdhsa_private_segment_fixed_size 0
		.amdhsa_kernarg_size 24
		.amdhsa_user_sgpr_count 15
		.amdhsa_user_sgpr_dispatch_ptr 0
		.amdhsa_user_sgpr_queue_ptr 0
		.amdhsa_user_sgpr_kernarg_segment_ptr 1
		.amdhsa_user_sgpr_dispatch_id 0
		.amdhsa_user_sgpr_private_segment_size 0
		.amdhsa_wavefront_size32 1
		.amdhsa_uses_dynamic_stack 0
		.amdhsa_enable_private_segment 0
		.amdhsa_system_sgpr_workgroup_id_x 1
		.amdhsa_system_sgpr_workgroup_id_y 0
		.amdhsa_system_sgpr_workgroup_id_z 0
		.amdhsa_system_sgpr_workgroup_info 0
		.amdhsa_system_vgpr_workitem_id 0
		.amdhsa_next_free_vgpr 11
		.amdhsa_next_free_sgpr 16
		.amdhsa_reserve_vcc 1
		.amdhsa_float_round_mode_32 0
		.amdhsa_float_round_mode_16_64 0
		.amdhsa_float_denorm_mode_32 3
		.amdhsa_float_denorm_mode_16_64 3
		.amdhsa_dx10_clamp 1
		.amdhsa_ieee_mode 1
		.amdhsa_fp16_overflow 0
		.amdhsa_workgroup_processor_mode 1
		.amdhsa_memory_ordered 1
		.amdhsa_forward_progress 0
		.amdhsa_shared_vgpr_count 0
		.amdhsa_exception_fp_ieee_invalid_op 0
		.amdhsa_exception_fp_denorm_src 0
		.amdhsa_exception_fp_ieee_div_zero 0
		.amdhsa_exception_fp_ieee_overflow 0
		.amdhsa_exception_fp_ieee_underflow 0
		.amdhsa_exception_fp_ieee_inexact 0
		.amdhsa_exception_int_div_zero 0
	.end_amdhsa_kernel
	.section	.text._Z6kernelI18striped_to_blockediLj256ELj7ELj100EEvPKT0_PKjPS1_,"axG",@progbits,_Z6kernelI18striped_to_blockediLj256ELj7ELj100EEvPKT0_PKjPS1_,comdat
.Lfunc_end34:
	.size	_Z6kernelI18striped_to_blockediLj256ELj7ELj100EEvPKT0_PKjPS1_, .Lfunc_end34-_Z6kernelI18striped_to_blockediLj256ELj7ELj100EEvPKT0_PKjPS1_
                                        ; -- End function
	.section	.AMDGPU.csdata,"",@progbits
; Kernel info:
; codeLenInByte = 344
; NumSgprs: 18
; NumVgprs: 11
; ScratchSize: 0
; MemoryBound: 0
; FloatMode: 240
; IeeeMode: 1
; LDSByteSize: 7168 bytes/workgroup (compile time only)
; SGPRBlocks: 2
; VGPRBlocks: 1
; NumSGPRsForWavesPerEU: 18
; NumVGPRsForWavesPerEU: 11
; Occupancy: 16
; WaveLimiterHint : 1
; COMPUTE_PGM_RSRC2:SCRATCH_EN: 0
; COMPUTE_PGM_RSRC2:USER_SGPR: 15
; COMPUTE_PGM_RSRC2:TRAP_HANDLER: 0
; COMPUTE_PGM_RSRC2:TGID_X_EN: 1
; COMPUTE_PGM_RSRC2:TGID_Y_EN: 0
; COMPUTE_PGM_RSRC2:TGID_Z_EN: 0
; COMPUTE_PGM_RSRC2:TIDIG_COMP_CNT: 0
	.section	.text._Z6kernelI18striped_to_blockediLj256ELj8ELj100EEvPKT0_PKjPS1_,"axG",@progbits,_Z6kernelI18striped_to_blockediLj256ELj8ELj100EEvPKT0_PKjPS1_,comdat
	.protected	_Z6kernelI18striped_to_blockediLj256ELj8ELj100EEvPKT0_PKjPS1_ ; -- Begin function _Z6kernelI18striped_to_blockediLj256ELj8ELj100EEvPKT0_PKjPS1_
	.globl	_Z6kernelI18striped_to_blockediLj256ELj8ELj100EEvPKT0_PKjPS1_
	.p2align	8
	.type	_Z6kernelI18striped_to_blockediLj256ELj8ELj100EEvPKT0_PKjPS1_,@function
_Z6kernelI18striped_to_blockediLj256ELj8ELj100EEvPKT0_PKjPS1_: ; @_Z6kernelI18striped_to_blockediLj256ELj8ELj100EEvPKT0_PKjPS1_
; %bb.0:
	s_load_b64 s[4:5], s[0:1], 0x0
	s_mov_b32 s3, 0
	s_lshl_b32 s2, s15, 11
	v_lshlrev_b32_e32 v16, 2, v0
	s_lshl_b64 s[2:3], s[2:3], 2
	v_or_b32_e32 v10, 0x200, v0
	v_lshrrev_b32_e32 v11, 3, v0
	v_or_b32_e32 v14, 0x300, v0
	v_or_b32_e32 v15, 0x600, v0
	;; [unrolled: 1-line block ×3, first 2 shown]
	v_lshrrev_b32_e32 v10, 3, v10
	v_and_b32_e32 v11, 28, v11
	v_lshrrev_b32_e32 v19, 2, v0
	v_lshrrev_b32_e32 v15, 3, v15
	;; [unrolled: 1-line block ×3, first 2 shown]
	v_and_b32_e32 v13, 0x5c, v10
	s_delay_alu instid0(VALU_DEP_3) | instskip(NEXT) | instid1(VALU_DEP_3)
	v_and_b32_e32 v15, 0xdc, v15
	v_and_b32_e32 v17, 0xfc, v17
	s_waitcnt lgkmcnt(0)
	s_add_u32 s4, s4, s2
	s_addc_u32 s5, s5, s3
	v_add_co_u32 v1, s6, s4, v16
	s_delay_alu instid0(VALU_DEP_1) | instskip(SKIP_1) | instid1(VALU_DEP_3)
	v_add_co_ci_u32_e64 v2, null, s5, 0, s6
	v_add_nc_u32_e32 v15, v15, v16
	v_add_co_u32 v8, vcc_lo, 0x1000, v1
	s_delay_alu instid0(VALU_DEP_3)
	v_add_co_ci_u32_e32 v9, vcc_lo, 0, v2, vcc_lo
	s_clause 0x7
	global_load_b32 v1, v16, s[4:5]
	global_load_b32 v2, v16, s[4:5] offset:1024
	global_load_b32 v3, v16, s[4:5] offset:2048
	global_load_b32 v4, v16, s[4:5] offset:3072
	global_load_b32 v5, v[8:9], off
	global_load_b32 v6, v[8:9], off offset:1024
	global_load_b32 v7, v[8:9], off offset:2048
	;; [unrolled: 1-line block ×3, first 2 shown]
	v_or_b32_e32 v9, 0x100, v0
	s_movk_i32 s4, 0x64
	s_delay_alu instid0(VALU_DEP_1) | instskip(NEXT) | instid1(VALU_DEP_1)
	v_lshrrev_b32_e32 v9, 3, v9
	v_and_b32_e32 v12, 60, v9
	v_add_nc_u32_e32 v9, v11, v16
	v_add_nc_u32_e32 v11, v13, v16
	v_or_b32_e32 v13, 0x400, v0
	s_delay_alu instid0(VALU_DEP_4) | instskip(SKIP_2) | instid1(VALU_DEP_4)
	v_add_nc_u32_e32 v10, v12, v16
	v_lshrrev_b32_e32 v12, 3, v14
	v_or_b32_e32 v14, 0x500, v0
	v_lshrrev_b32_e32 v18, 3, v13
	s_delay_alu instid0(VALU_DEP_3) | instskip(NEXT) | instid1(VALU_DEP_3)
	v_and_b32_e32 v12, 0x7c, v12
	v_lshrrev_b32_e32 v14, 3, v14
	s_delay_alu instid0(VALU_DEP_3) | instskip(NEXT) | instid1(VALU_DEP_3)
	v_and_b32_e32 v18, 0x9c, v18
	v_add_nc_u32_e32 v13, v12, v16
	s_delay_alu instid0(VALU_DEP_3) | instskip(SKIP_1) | instid1(VALU_DEP_4)
	v_and_b32_e32 v14, 0xbc, v14
	v_lshlrev_b32_e32 v12, 3, v0
	v_add_nc_u32_e32 v0, v18, v16
	s_delay_alu instid0(VALU_DEP_3) | instskip(SKIP_1) | instid1(VALU_DEP_4)
	v_add_nc_u32_e32 v14, v14, v16
	v_add_nc_u32_e32 v16, v17, v16
	v_add_lshl_u32 v17, v19, v12, 2
	.p2align	6
.LBB35_1:                               ; =>This Inner Loop Header: Depth=1
	s_waitcnt vmcnt(7)
	ds_store_b32 v9, v1
	s_waitcnt vmcnt(6)
	ds_store_b32 v10, v2 offset:1024
	s_waitcnt vmcnt(5)
	ds_store_b32 v11, v3 offset:2048
	;; [unrolled: 2-line block ×7, first 2 shown]
	s_waitcnt lgkmcnt(0)
	s_barrier
	buffer_gl0_inv
	ds_load_2addr_b32 v[1:2], v17 offset1:1
	ds_load_2addr_b32 v[3:4], v17 offset0:2 offset1:3
	ds_load_2addr_b32 v[5:6], v17 offset0:4 offset1:5
	;; [unrolled: 1-line block ×3, first 2 shown]
	s_add_i32 s4, s4, -1
	s_waitcnt lgkmcnt(0)
	s_cmp_lg_u32 s4, 0
	s_barrier
	buffer_gl0_inv
	s_cbranch_scc1 .LBB35_1
; %bb.2:
	s_load_b64 s[0:1], s[0:1], 0x10
	v_lshlrev_b32_e32 v0, 2, v12
	s_waitcnt lgkmcnt(0)
	s_add_u32 s0, s0, s2
	s_addc_u32 s1, s1, s3
	s_clause 0x1
	global_store_b128 v0, v[1:4], s[0:1]
	global_store_b128 v0, v[5:8], s[0:1] offset:16
	s_nop 0
	s_sendmsg sendmsg(MSG_DEALLOC_VGPRS)
	s_endpgm
	.section	.rodata,"a",@progbits
	.p2align	6, 0x0
	.amdhsa_kernel _Z6kernelI18striped_to_blockediLj256ELj8ELj100EEvPKT0_PKjPS1_
		.amdhsa_group_segment_fixed_size 8448
		.amdhsa_private_segment_fixed_size 0
		.amdhsa_kernarg_size 24
		.amdhsa_user_sgpr_count 15
		.amdhsa_user_sgpr_dispatch_ptr 0
		.amdhsa_user_sgpr_queue_ptr 0
		.amdhsa_user_sgpr_kernarg_segment_ptr 1
		.amdhsa_user_sgpr_dispatch_id 0
		.amdhsa_user_sgpr_private_segment_size 0
		.amdhsa_wavefront_size32 1
		.amdhsa_uses_dynamic_stack 0
		.amdhsa_enable_private_segment 0
		.amdhsa_system_sgpr_workgroup_id_x 1
		.amdhsa_system_sgpr_workgroup_id_y 0
		.amdhsa_system_sgpr_workgroup_id_z 0
		.amdhsa_system_sgpr_workgroup_info 0
		.amdhsa_system_vgpr_workitem_id 0
		.amdhsa_next_free_vgpr 20
		.amdhsa_next_free_sgpr 16
		.amdhsa_reserve_vcc 1
		.amdhsa_float_round_mode_32 0
		.amdhsa_float_round_mode_16_64 0
		.amdhsa_float_denorm_mode_32 3
		.amdhsa_float_denorm_mode_16_64 3
		.amdhsa_dx10_clamp 1
		.amdhsa_ieee_mode 1
		.amdhsa_fp16_overflow 0
		.amdhsa_workgroup_processor_mode 1
		.amdhsa_memory_ordered 1
		.amdhsa_forward_progress 0
		.amdhsa_shared_vgpr_count 0
		.amdhsa_exception_fp_ieee_invalid_op 0
		.amdhsa_exception_fp_denorm_src 0
		.amdhsa_exception_fp_ieee_div_zero 0
		.amdhsa_exception_fp_ieee_overflow 0
		.amdhsa_exception_fp_ieee_underflow 0
		.amdhsa_exception_fp_ieee_inexact 0
		.amdhsa_exception_int_div_zero 0
	.end_amdhsa_kernel
	.section	.text._Z6kernelI18striped_to_blockediLj256ELj8ELj100EEvPKT0_PKjPS1_,"axG",@progbits,_Z6kernelI18striped_to_blockediLj256ELj8ELj100EEvPKT0_PKjPS1_,comdat
.Lfunc_end35:
	.size	_Z6kernelI18striped_to_blockediLj256ELj8ELj100EEvPKT0_PKjPS1_, .Lfunc_end35-_Z6kernelI18striped_to_blockediLj256ELj8ELj100EEvPKT0_PKjPS1_
                                        ; -- End function
	.section	.AMDGPU.csdata,"",@progbits
; Kernel info:
; codeLenInByte = 596
; NumSgprs: 18
; NumVgprs: 20
; ScratchSize: 0
; MemoryBound: 0
; FloatMode: 240
; IeeeMode: 1
; LDSByteSize: 8448 bytes/workgroup (compile time only)
; SGPRBlocks: 2
; VGPRBlocks: 2
; NumSGPRsForWavesPerEU: 18
; NumVGPRsForWavesPerEU: 20
; Occupancy: 16
; WaveLimiterHint : 1
; COMPUTE_PGM_RSRC2:SCRATCH_EN: 0
; COMPUTE_PGM_RSRC2:USER_SGPR: 15
; COMPUTE_PGM_RSRC2:TRAP_HANDLER: 0
; COMPUTE_PGM_RSRC2:TGID_X_EN: 1
; COMPUTE_PGM_RSRC2:TGID_Y_EN: 0
; COMPUTE_PGM_RSRC2:TGID_Z_EN: 0
; COMPUTE_PGM_RSRC2:TIDIG_COMP_CNT: 0
	.section	.text._Z6kernelI18striped_to_blockedaLj256ELj1ELj100EEvPKT0_PKjPS1_,"axG",@progbits,_Z6kernelI18striped_to_blockedaLj256ELj1ELj100EEvPKT0_PKjPS1_,comdat
	.protected	_Z6kernelI18striped_to_blockedaLj256ELj1ELj100EEvPKT0_PKjPS1_ ; -- Begin function _Z6kernelI18striped_to_blockedaLj256ELj1ELj100EEvPKT0_PKjPS1_
	.globl	_Z6kernelI18striped_to_blockedaLj256ELj1ELj100EEvPKT0_PKjPS1_
	.p2align	8
	.type	_Z6kernelI18striped_to_blockedaLj256ELj1ELj100EEvPKT0_PKjPS1_,@function
_Z6kernelI18striped_to_blockedaLj256ELj1ELj100EEvPKT0_PKjPS1_: ; @_Z6kernelI18striped_to_blockedaLj256ELj1ELj100EEvPKT0_PKjPS1_
; %bb.0:
	s_load_b64 s[4:5], s[0:1], 0x0
	s_lshl_b32 s2, s15, 8
	s_movk_i32 s3, 0x64
	s_waitcnt lgkmcnt(0)
	s_add_u32 s4, s4, s2
	s_addc_u32 s5, s5, 0
	global_load_u8 v1, v0, s[4:5]
.LBB36_1:                               ; =>This Inner Loop Header: Depth=1
	s_waitcnt vmcnt(0)
	ds_store_b8 v0, v1
	s_waitcnt lgkmcnt(0)
	s_barrier
	buffer_gl0_inv
	ds_load_u8 v1, v0
	s_add_i32 s3, s3, -1
	s_waitcnt lgkmcnt(0)
	s_cmp_lg_u32 s3, 0
	s_barrier
	buffer_gl0_inv
	s_cbranch_scc1 .LBB36_1
; %bb.2:
	s_load_b64 s[0:1], s[0:1], 0x10
	s_waitcnt lgkmcnt(0)
	s_add_u32 s0, s0, s2
	s_addc_u32 s1, s1, 0
	v_add_co_u32 v2, s0, s0, v0
	s_delay_alu instid0(VALU_DEP_1)
	v_add_co_ci_u32_e64 v3, null, s1, 0, s0
	global_store_b8 v[2:3], v1, off
	s_nop 0
	s_sendmsg sendmsg(MSG_DEALLOC_VGPRS)
	s_endpgm
	.section	.rodata,"a",@progbits
	.p2align	6, 0x0
	.amdhsa_kernel _Z6kernelI18striped_to_blockedaLj256ELj1ELj100EEvPKT0_PKjPS1_
		.amdhsa_group_segment_fixed_size 256
		.amdhsa_private_segment_fixed_size 0
		.amdhsa_kernarg_size 24
		.amdhsa_user_sgpr_count 15
		.amdhsa_user_sgpr_dispatch_ptr 0
		.amdhsa_user_sgpr_queue_ptr 0
		.amdhsa_user_sgpr_kernarg_segment_ptr 1
		.amdhsa_user_sgpr_dispatch_id 0
		.amdhsa_user_sgpr_private_segment_size 0
		.amdhsa_wavefront_size32 1
		.amdhsa_uses_dynamic_stack 0
		.amdhsa_enable_private_segment 0
		.amdhsa_system_sgpr_workgroup_id_x 1
		.amdhsa_system_sgpr_workgroup_id_y 0
		.amdhsa_system_sgpr_workgroup_id_z 0
		.amdhsa_system_sgpr_workgroup_info 0
		.amdhsa_system_vgpr_workitem_id 0
		.amdhsa_next_free_vgpr 4
		.amdhsa_next_free_sgpr 16
		.amdhsa_reserve_vcc 0
		.amdhsa_float_round_mode_32 0
		.amdhsa_float_round_mode_16_64 0
		.amdhsa_float_denorm_mode_32 3
		.amdhsa_float_denorm_mode_16_64 3
		.amdhsa_dx10_clamp 1
		.amdhsa_ieee_mode 1
		.amdhsa_fp16_overflow 0
		.amdhsa_workgroup_processor_mode 1
		.amdhsa_memory_ordered 1
		.amdhsa_forward_progress 0
		.amdhsa_shared_vgpr_count 0
		.amdhsa_exception_fp_ieee_invalid_op 0
		.amdhsa_exception_fp_denorm_src 0
		.amdhsa_exception_fp_ieee_div_zero 0
		.amdhsa_exception_fp_ieee_overflow 0
		.amdhsa_exception_fp_ieee_underflow 0
		.amdhsa_exception_fp_ieee_inexact 0
		.amdhsa_exception_int_div_zero 0
	.end_amdhsa_kernel
	.section	.text._Z6kernelI18striped_to_blockedaLj256ELj1ELj100EEvPKT0_PKjPS1_,"axG",@progbits,_Z6kernelI18striped_to_blockedaLj256ELj1ELj100EEvPKT0_PKjPS1_,comdat
.Lfunc_end36:
	.size	_Z6kernelI18striped_to_blockedaLj256ELj1ELj100EEvPKT0_PKjPS1_, .Lfunc_end36-_Z6kernelI18striped_to_blockedaLj256ELj1ELj100EEvPKT0_PKjPS1_
                                        ; -- End function
	.section	.AMDGPU.csdata,"",@progbits
; Kernel info:
; codeLenInByte = 160
; NumSgprs: 16
; NumVgprs: 4
; ScratchSize: 0
; MemoryBound: 0
; FloatMode: 240
; IeeeMode: 1
; LDSByteSize: 256 bytes/workgroup (compile time only)
; SGPRBlocks: 1
; VGPRBlocks: 0
; NumSGPRsForWavesPerEU: 16
; NumVGPRsForWavesPerEU: 4
; Occupancy: 16
; WaveLimiterHint : 0
; COMPUTE_PGM_RSRC2:SCRATCH_EN: 0
; COMPUTE_PGM_RSRC2:USER_SGPR: 15
; COMPUTE_PGM_RSRC2:TRAP_HANDLER: 0
; COMPUTE_PGM_RSRC2:TGID_X_EN: 1
; COMPUTE_PGM_RSRC2:TGID_Y_EN: 0
; COMPUTE_PGM_RSRC2:TGID_Z_EN: 0
; COMPUTE_PGM_RSRC2:TIDIG_COMP_CNT: 0
	.section	.text._Z6kernelI18striped_to_blockedaLj256ELj2ELj100EEvPKT0_PKjPS1_,"axG",@progbits,_Z6kernelI18striped_to_blockedaLj256ELj2ELj100EEvPKT0_PKjPS1_,comdat
	.protected	_Z6kernelI18striped_to_blockedaLj256ELj2ELj100EEvPKT0_PKjPS1_ ; -- Begin function _Z6kernelI18striped_to_blockedaLj256ELj2ELj100EEvPKT0_PKjPS1_
	.globl	_Z6kernelI18striped_to_blockedaLj256ELj2ELj100EEvPKT0_PKjPS1_
	.p2align	8
	.type	_Z6kernelI18striped_to_blockedaLj256ELj2ELj100EEvPKT0_PKjPS1_,@function
_Z6kernelI18striped_to_blockedaLj256ELj2ELj100EEvPKT0_PKjPS1_: ; @_Z6kernelI18striped_to_blockedaLj256ELj2ELj100EEvPKT0_PKjPS1_
; %bb.0:
	s_load_b64 s[4:5], s[0:1], 0x0
	s_lshl_b32 s2, s15, 9
	v_or_b32_e32 v3, 0x100, v0
	v_lshrrev_b32_e32 v4, 4, v0
	v_lshrrev_b32_e32 v5, 5, v0
	s_movk_i32 s3, 0x64
	s_delay_alu instid0(VALU_DEP_3) | instskip(NEXT) | instid1(VALU_DEP_3)
	v_lshrrev_b32_e32 v3, 5, v3
	v_and_b32_e32 v4, 12, v4
	s_delay_alu instid0(VALU_DEP_3)
	v_and_b32_e32 v5, 4, v5
	s_waitcnt lgkmcnt(0)
	s_add_u32 s4, s4, s2
	s_addc_u32 s5, s5, 0
	s_clause 0x1
	global_load_u8 v1, v0, s[4:5] offset:256
	global_load_u8 v2, v0, s[4:5]
	s_waitcnt vmcnt(1)
	v_lshlrev_b16 v6, 8, v1
	v_lshlrev_b32_e32 v1, 1, v0
	s_waitcnt vmcnt(0)
	s_delay_alu instid0(VALU_DEP_2) | instskip(SKIP_1) | instid1(VALU_DEP_3)
	v_or_b32_e32 v2, v2, v6
	v_and_b32_e32 v6, 12, v3
	v_add_nc_u32_e32 v3, v4, v1
	v_add_nc_u32_e32 v4, v5, v0
	s_delay_alu instid0(VALU_DEP_4) | instskip(NEXT) | instid1(VALU_DEP_4)
	v_and_b32_e32 v2, 0xffff, v2
	v_add_nc_u32_e32 v0, v6, v0
.LBB37_1:                               ; =>This Inner Loop Header: Depth=1
	s_delay_alu instid0(VALU_DEP_2)
	v_lshrrev_b16 v5, 8, v2
	s_add_i32 s3, s3, -1
	ds_store_b8 v4, v2
	ds_store_b8 v0, v5 offset:256
	s_waitcnt lgkmcnt(0)
	s_barrier
	buffer_gl0_inv
	ds_load_u16 v2, v3
	s_cmp_lg_u32 s3, 0
	s_waitcnt lgkmcnt(0)
	s_barrier
	buffer_gl0_inv
	s_cbranch_scc1 .LBB37_1
; %bb.2:
	s_load_b64 s[0:1], s[0:1], 0x10
	v_lshrrev_b16 v0, 8, v2
	v_and_b32_e32 v2, 0xff, v2
	s_delay_alu instid0(VALU_DEP_2) | instskip(NEXT) | instid1(VALU_DEP_1)
	v_lshlrev_b16 v0, 8, v0
	v_or_b32_e32 v0, v2, v0
	s_waitcnt lgkmcnt(0)
	s_add_u32 s0, s0, s2
	s_addc_u32 s1, s1, 0
	global_store_b16 v1, v0, s[0:1]
	s_nop 0
	s_sendmsg sendmsg(MSG_DEALLOC_VGPRS)
	s_endpgm
	.section	.rodata,"a",@progbits
	.p2align	6, 0x0
	.amdhsa_kernel _Z6kernelI18striped_to_blockedaLj256ELj2ELj100EEvPKT0_PKjPS1_
		.amdhsa_group_segment_fixed_size 528
		.amdhsa_private_segment_fixed_size 0
		.amdhsa_kernarg_size 24
		.amdhsa_user_sgpr_count 15
		.amdhsa_user_sgpr_dispatch_ptr 0
		.amdhsa_user_sgpr_queue_ptr 0
		.amdhsa_user_sgpr_kernarg_segment_ptr 1
		.amdhsa_user_sgpr_dispatch_id 0
		.amdhsa_user_sgpr_private_segment_size 0
		.amdhsa_wavefront_size32 1
		.amdhsa_uses_dynamic_stack 0
		.amdhsa_enable_private_segment 0
		.amdhsa_system_sgpr_workgroup_id_x 1
		.amdhsa_system_sgpr_workgroup_id_y 0
		.amdhsa_system_sgpr_workgroup_id_z 0
		.amdhsa_system_sgpr_workgroup_info 0
		.amdhsa_system_vgpr_workitem_id 0
		.amdhsa_next_free_vgpr 7
		.amdhsa_next_free_sgpr 16
		.amdhsa_reserve_vcc 0
		.amdhsa_float_round_mode_32 0
		.amdhsa_float_round_mode_16_64 0
		.amdhsa_float_denorm_mode_32 3
		.amdhsa_float_denorm_mode_16_64 3
		.amdhsa_dx10_clamp 1
		.amdhsa_ieee_mode 1
		.amdhsa_fp16_overflow 0
		.amdhsa_workgroup_processor_mode 1
		.amdhsa_memory_ordered 1
		.amdhsa_forward_progress 0
		.amdhsa_shared_vgpr_count 0
		.amdhsa_exception_fp_ieee_invalid_op 0
		.amdhsa_exception_fp_denorm_src 0
		.amdhsa_exception_fp_ieee_div_zero 0
		.amdhsa_exception_fp_ieee_overflow 0
		.amdhsa_exception_fp_ieee_underflow 0
		.amdhsa_exception_fp_ieee_inexact 0
		.amdhsa_exception_int_div_zero 0
	.end_amdhsa_kernel
	.section	.text._Z6kernelI18striped_to_blockedaLj256ELj2ELj100EEvPKT0_PKjPS1_,"axG",@progbits,_Z6kernelI18striped_to_blockedaLj256ELj2ELj100EEvPKT0_PKjPS1_,comdat
.Lfunc_end37:
	.size	_Z6kernelI18striped_to_blockedaLj256ELj2ELj100EEvPKT0_PKjPS1_, .Lfunc_end37-_Z6kernelI18striped_to_blockedaLj256ELj2ELj100EEvPKT0_PKjPS1_
                                        ; -- End function
	.section	.AMDGPU.csdata,"",@progbits
; Kernel info:
; codeLenInByte = 292
; NumSgprs: 16
; NumVgprs: 7
; ScratchSize: 0
; MemoryBound: 0
; FloatMode: 240
; IeeeMode: 1
; LDSByteSize: 528 bytes/workgroup (compile time only)
; SGPRBlocks: 1
; VGPRBlocks: 0
; NumSGPRsForWavesPerEU: 16
; NumVGPRsForWavesPerEU: 7
; Occupancy: 16
; WaveLimiterHint : 1
; COMPUTE_PGM_RSRC2:SCRATCH_EN: 0
; COMPUTE_PGM_RSRC2:USER_SGPR: 15
; COMPUTE_PGM_RSRC2:TRAP_HANDLER: 0
; COMPUTE_PGM_RSRC2:TGID_X_EN: 1
; COMPUTE_PGM_RSRC2:TGID_Y_EN: 0
; COMPUTE_PGM_RSRC2:TGID_Z_EN: 0
; COMPUTE_PGM_RSRC2:TIDIG_COMP_CNT: 0
	.section	.text._Z6kernelI18striped_to_blockedaLj256ELj3ELj100EEvPKT0_PKjPS1_,"axG",@progbits,_Z6kernelI18striped_to_blockedaLj256ELj3ELj100EEvPKT0_PKjPS1_,comdat
	.protected	_Z6kernelI18striped_to_blockedaLj256ELj3ELj100EEvPKT0_PKjPS1_ ; -- Begin function _Z6kernelI18striped_to_blockedaLj256ELj3ELj100EEvPKT0_PKjPS1_
	.globl	_Z6kernelI18striped_to_blockedaLj256ELj3ELj100EEvPKT0_PKjPS1_
	.p2align	8
	.type	_Z6kernelI18striped_to_blockedaLj256ELj3ELj100EEvPKT0_PKjPS1_,@function
_Z6kernelI18striped_to_blockedaLj256ELj3ELj100EEvPKT0_PKjPS1_: ; @_Z6kernelI18striped_to_blockedaLj256ELj3ELj100EEvPKT0_PKjPS1_
; %bb.0:
	s_load_b64 s[4:5], s[0:1], 0x0
	s_mul_i32 s2, s15, 0x300
	s_movk_i32 s3, 0x64
	s_waitcnt lgkmcnt(0)
	s_add_u32 s4, s4, s2
	s_addc_u32 s5, s5, 0
	s_clause 0x2
	global_load_u8 v1, v0, s[4:5] offset:256
	global_load_u8 v2, v0, s[4:5]
	global_load_u8 v3, v0, s[4:5] offset:512
	s_waitcnt vmcnt(2)
	v_lshlrev_b16 v1, 8, v1
	s_waitcnt vmcnt(1)
	s_delay_alu instid0(VALU_DEP_1) | instskip(SKIP_1) | instid1(VALU_DEP_2)
	v_or_b32_e32 v1, v2, v1
	v_lshlrev_b32_e32 v2, 1, v0
	v_and_b32_e32 v1, 0xffff, v1
	s_waitcnt vmcnt(0)
	s_delay_alu instid0(VALU_DEP_1) | instskip(NEXT) | instid1(VALU_DEP_3)
	v_lshl_or_b32 v3, v3, 16, v1
	v_add_nc_u32_e32 v1, v0, v2
	.p2align	6
.LBB38_1:                               ; =>This Inner Loop Header: Depth=1
	s_delay_alu instid0(VALU_DEP_1)
	v_lshrrev_b32_e32 v2, 8, v3
	s_add_i32 s3, s3, -1
	ds_store_b8 v0, v3
	ds_store_b8 v0, v2 offset:256
	ds_store_b8_d16_hi v0, v3 offset:512
	s_waitcnt lgkmcnt(0)
	s_barrier
	buffer_gl0_inv
	ds_load_u8 v3, v1 offset:1
	ds_load_u8 v4, v1
	ds_load_u8 v2, v1 offset:2
	s_cmp_lg_u32 s3, 0
	s_waitcnt lgkmcnt(0)
	s_barrier
	buffer_gl0_inv
	v_lshlrev_b16 v3, 8, v3
	s_delay_alu instid0(VALU_DEP_1) | instskip(SKIP_1) | instid1(VALU_DEP_2)
	v_or_b32_e32 v4, v4, v3
	v_lshlrev_b32_e32 v3, 16, v2
	v_and_b32_e32 v5, 0xffff, v4
	s_delay_alu instid0(VALU_DEP_1)
	v_or_b32_e32 v3, v5, v3
	s_cbranch_scc1 .LBB38_1
; %bb.2:
	s_load_b64 s[0:1], s[0:1], 0x10
	v_mul_u32_u24_e32 v0, 3, v0
	s_waitcnt lgkmcnt(0)
	s_add_u32 s0, s0, s2
	s_addc_u32 s1, s1, 0
	s_clause 0x1
	global_store_b8 v0, v2, s[0:1] offset:2
	global_store_b16 v0, v4, s[0:1]
	s_nop 0
	s_sendmsg sendmsg(MSG_DEALLOC_VGPRS)
	s_endpgm
	.section	.rodata,"a",@progbits
	.p2align	6, 0x0
	.amdhsa_kernel _Z6kernelI18striped_to_blockedaLj256ELj3ELj100EEvPKT0_PKjPS1_
		.amdhsa_group_segment_fixed_size 768
		.amdhsa_private_segment_fixed_size 0
		.amdhsa_kernarg_size 24
		.amdhsa_user_sgpr_count 15
		.amdhsa_user_sgpr_dispatch_ptr 0
		.amdhsa_user_sgpr_queue_ptr 0
		.amdhsa_user_sgpr_kernarg_segment_ptr 1
		.amdhsa_user_sgpr_dispatch_id 0
		.amdhsa_user_sgpr_private_segment_size 0
		.amdhsa_wavefront_size32 1
		.amdhsa_uses_dynamic_stack 0
		.amdhsa_enable_private_segment 0
		.amdhsa_system_sgpr_workgroup_id_x 1
		.amdhsa_system_sgpr_workgroup_id_y 0
		.amdhsa_system_sgpr_workgroup_id_z 0
		.amdhsa_system_sgpr_workgroup_info 0
		.amdhsa_system_vgpr_workitem_id 0
		.amdhsa_next_free_vgpr 6
		.amdhsa_next_free_sgpr 16
		.amdhsa_reserve_vcc 0
		.amdhsa_float_round_mode_32 0
		.amdhsa_float_round_mode_16_64 0
		.amdhsa_float_denorm_mode_32 3
		.amdhsa_float_denorm_mode_16_64 3
		.amdhsa_dx10_clamp 1
		.amdhsa_ieee_mode 1
		.amdhsa_fp16_overflow 0
		.amdhsa_workgroup_processor_mode 1
		.amdhsa_memory_ordered 1
		.amdhsa_forward_progress 0
		.amdhsa_shared_vgpr_count 0
		.amdhsa_exception_fp_ieee_invalid_op 0
		.amdhsa_exception_fp_denorm_src 0
		.amdhsa_exception_fp_ieee_div_zero 0
		.amdhsa_exception_fp_ieee_overflow 0
		.amdhsa_exception_fp_ieee_underflow 0
		.amdhsa_exception_fp_ieee_inexact 0
		.amdhsa_exception_int_div_zero 0
	.end_amdhsa_kernel
	.section	.text._Z6kernelI18striped_to_blockedaLj256ELj3ELj100EEvPKT0_PKjPS1_,"axG",@progbits,_Z6kernelI18striped_to_blockedaLj256ELj3ELj100EEvPKT0_PKjPS1_,comdat
.Lfunc_end38:
	.size	_Z6kernelI18striped_to_blockedaLj256ELj3ELj100EEvPKT0_PKjPS1_, .Lfunc_end38-_Z6kernelI18striped_to_blockedaLj256ELj3ELj100EEvPKT0_PKjPS1_
                                        ; -- End function
	.section	.AMDGPU.csdata,"",@progbits
; Kernel info:
; codeLenInByte = 308
; NumSgprs: 16
; NumVgprs: 6
; ScratchSize: 0
; MemoryBound: 0
; FloatMode: 240
; IeeeMode: 1
; LDSByteSize: 768 bytes/workgroup (compile time only)
; SGPRBlocks: 1
; VGPRBlocks: 0
; NumSGPRsForWavesPerEU: 16
; NumVGPRsForWavesPerEU: 6
; Occupancy: 16
; WaveLimiterHint : 1
; COMPUTE_PGM_RSRC2:SCRATCH_EN: 0
; COMPUTE_PGM_RSRC2:USER_SGPR: 15
; COMPUTE_PGM_RSRC2:TRAP_HANDLER: 0
; COMPUTE_PGM_RSRC2:TGID_X_EN: 1
; COMPUTE_PGM_RSRC2:TGID_Y_EN: 0
; COMPUTE_PGM_RSRC2:TGID_Z_EN: 0
; COMPUTE_PGM_RSRC2:TIDIG_COMP_CNT: 0
	.section	.text._Z6kernelI18striped_to_blockedaLj256ELj4ELj100EEvPKT0_PKjPS1_,"axG",@progbits,_Z6kernelI18striped_to_blockedaLj256ELj4ELj100EEvPKT0_PKjPS1_,comdat
	.protected	_Z6kernelI18striped_to_blockedaLj256ELj4ELj100EEvPKT0_PKjPS1_ ; -- Begin function _Z6kernelI18striped_to_blockedaLj256ELj4ELj100EEvPKT0_PKjPS1_
	.globl	_Z6kernelI18striped_to_blockedaLj256ELj4ELj100EEvPKT0_PKjPS1_
	.p2align	8
	.type	_Z6kernelI18striped_to_blockedaLj256ELj4ELj100EEvPKT0_PKjPS1_,@function
_Z6kernelI18striped_to_blockedaLj256ELj4ELj100EEvPKT0_PKjPS1_: ; @_Z6kernelI18striped_to_blockedaLj256ELj4ELj100EEvPKT0_PKjPS1_
; %bb.0:
	s_load_b64 s[4:5], s[0:1], 0x0
	s_lshl_b32 s2, s15, 10
	v_or_b32_e32 v7, 0x100, v0
	v_or_b32_e32 v8, 0x200, v0
	;; [unrolled: 1-line block ×3, first 2 shown]
	v_lshrrev_b32_e32 v6, 5, v0
	v_lshrrev_b32_e32 v10, 3, v0
	;; [unrolled: 1-line block ×5, first 2 shown]
	v_lshlrev_b32_e32 v1, 2, v0
	v_and_b32_e32 v6, 4, v6
	v_and_b32_e32 v10, 28, v10
	s_movk_i32 s3, 0x64
	s_waitcnt lgkmcnt(0)
	s_add_u32 s4, s4, s2
	s_addc_u32 s5, s5, 0
	s_clause 0x3
	global_load_u8 v2, v0, s[4:5] offset:256
	global_load_u8 v3, v0, s[4:5] offset:768
	global_load_u8 v4, v0, s[4:5]
	global_load_u8 v5, v0, s[4:5] offset:512
	s_waitcnt vmcnt(3)
	v_lshlrev_b16 v2, 8, v2
	s_waitcnt vmcnt(2)
	v_lshlrev_b16 v3, 8, v3
	s_waitcnt vmcnt(1)
	s_delay_alu instid0(VALU_DEP_2) | instskip(SKIP_1) | instid1(VALU_DEP_2)
	v_or_b32_e32 v2, v4, v2
	s_waitcnt vmcnt(0)
	v_or_b32_e32 v3, v5, v3
	v_and_b32_e32 v4, 12, v7
	v_and_b32_e32 v5, 20, v8
	;; [unrolled: 1-line block ×4, first 2 shown]
	v_lshlrev_b32_e32 v9, 16, v3
	v_add_nc_u32_e32 v2, v10, v1
	v_add_nc_u32_e32 v3, v6, v0
	;; [unrolled: 1-line block ×4, first 2 shown]
	v_or_b32_e32 v5, v8, v9
	v_add_nc_u32_e32 v0, v7, v0
	.p2align	6
.LBB39_1:                               ; =>This Inner Loop Header: Depth=1
	s_delay_alu instid0(VALU_DEP_2)
	v_lshrrev_b32_e32 v7, 8, v5
	v_lshrrev_b32_e32 v8, 24, v5
	s_add_i32 s3, s3, -1
	ds_store_b8 v3, v5
	ds_store_b8 v4, v7 offset:256
	ds_store_b8_d16_hi v6, v5 offset:512
	ds_store_b8 v0, v8 offset:768
	s_waitcnt lgkmcnt(0)
	s_barrier
	buffer_gl0_inv
	ds_load_b32 v5, v2
	s_cmp_lg_u32 s3, 0
	s_waitcnt lgkmcnt(0)
	s_barrier
	buffer_gl0_inv
	s_cbranch_scc1 .LBB39_1
; %bb.2:
	s_load_b64 s[0:1], s[0:1], 0x10
	s_waitcnt lgkmcnt(0)
	s_add_u32 s0, s0, s2
	s_addc_u32 s1, s1, 0
	global_store_b32 v1, v5, s[0:1]
	s_nop 0
	s_sendmsg sendmsg(MSG_DEALLOC_VGPRS)
	s_endpgm
	.section	.rodata,"a",@progbits
	.p2align	6, 0x0
	.amdhsa_kernel _Z6kernelI18striped_to_blockedaLj256ELj4ELj100EEvPKT0_PKjPS1_
		.amdhsa_group_segment_fixed_size 1056
		.amdhsa_private_segment_fixed_size 0
		.amdhsa_kernarg_size 24
		.amdhsa_user_sgpr_count 15
		.amdhsa_user_sgpr_dispatch_ptr 0
		.amdhsa_user_sgpr_queue_ptr 0
		.amdhsa_user_sgpr_kernarg_segment_ptr 1
		.amdhsa_user_sgpr_dispatch_id 0
		.amdhsa_user_sgpr_private_segment_size 0
		.amdhsa_wavefront_size32 1
		.amdhsa_uses_dynamic_stack 0
		.amdhsa_enable_private_segment 0
		.amdhsa_system_sgpr_workgroup_id_x 1
		.amdhsa_system_sgpr_workgroup_id_y 0
		.amdhsa_system_sgpr_workgroup_id_z 0
		.amdhsa_system_sgpr_workgroup_info 0
		.amdhsa_system_vgpr_workitem_id 0
		.amdhsa_next_free_vgpr 11
		.amdhsa_next_free_sgpr 16
		.amdhsa_reserve_vcc 0
		.amdhsa_float_round_mode_32 0
		.amdhsa_float_round_mode_16_64 0
		.amdhsa_float_denorm_mode_32 3
		.amdhsa_float_denorm_mode_16_64 3
		.amdhsa_dx10_clamp 1
		.amdhsa_ieee_mode 1
		.amdhsa_fp16_overflow 0
		.amdhsa_workgroup_processor_mode 1
		.amdhsa_memory_ordered 1
		.amdhsa_forward_progress 0
		.amdhsa_shared_vgpr_count 0
		.amdhsa_exception_fp_ieee_invalid_op 0
		.amdhsa_exception_fp_denorm_src 0
		.amdhsa_exception_fp_ieee_div_zero 0
		.amdhsa_exception_fp_ieee_overflow 0
		.amdhsa_exception_fp_ieee_underflow 0
		.amdhsa_exception_fp_ieee_inexact 0
		.amdhsa_exception_int_div_zero 0
	.end_amdhsa_kernel
	.section	.text._Z6kernelI18striped_to_blockedaLj256ELj4ELj100EEvPKT0_PKjPS1_,"axG",@progbits,_Z6kernelI18striped_to_blockedaLj256ELj4ELj100EEvPKT0_PKjPS1_,comdat
.Lfunc_end39:
	.size	_Z6kernelI18striped_to_blockedaLj256ELj4ELj100EEvPKT0_PKjPS1_, .Lfunc_end39-_Z6kernelI18striped_to_blockedaLj256ELj4ELj100EEvPKT0_PKjPS1_
                                        ; -- End function
	.section	.AMDGPU.csdata,"",@progbits
; Kernel info:
; codeLenInByte = 348
; NumSgprs: 16
; NumVgprs: 11
; ScratchSize: 0
; MemoryBound: 0
; FloatMode: 240
; IeeeMode: 1
; LDSByteSize: 1056 bytes/workgroup (compile time only)
; SGPRBlocks: 1
; VGPRBlocks: 1
; NumSGPRsForWavesPerEU: 16
; NumVGPRsForWavesPerEU: 11
; Occupancy: 16
; WaveLimiterHint : 1
; COMPUTE_PGM_RSRC2:SCRATCH_EN: 0
; COMPUTE_PGM_RSRC2:USER_SGPR: 15
; COMPUTE_PGM_RSRC2:TRAP_HANDLER: 0
; COMPUTE_PGM_RSRC2:TGID_X_EN: 1
; COMPUTE_PGM_RSRC2:TGID_Y_EN: 0
; COMPUTE_PGM_RSRC2:TGID_Z_EN: 0
; COMPUTE_PGM_RSRC2:TIDIG_COMP_CNT: 0
	.section	.text._Z6kernelI18striped_to_blockedaLj256ELj7ELj100EEvPKT0_PKjPS1_,"axG",@progbits,_Z6kernelI18striped_to_blockedaLj256ELj7ELj100EEvPKT0_PKjPS1_,comdat
	.protected	_Z6kernelI18striped_to_blockedaLj256ELj7ELj100EEvPKT0_PKjPS1_ ; -- Begin function _Z6kernelI18striped_to_blockedaLj256ELj7ELj100EEvPKT0_PKjPS1_
	.globl	_Z6kernelI18striped_to_blockedaLj256ELj7ELj100EEvPKT0_PKjPS1_
	.p2align	8
	.type	_Z6kernelI18striped_to_blockedaLj256ELj7ELj100EEvPKT0_PKjPS1_,@function
_Z6kernelI18striped_to_blockedaLj256ELj7ELj100EEvPKT0_PKjPS1_: ; @_Z6kernelI18striped_to_blockedaLj256ELj7ELj100EEvPKT0_PKjPS1_
; %bb.0:
	s_load_b64 s[4:5], s[0:1], 0x0
	s_mul_i32 s2, s15, 0x700
	s_movk_i32 s3, 0x64
	s_waitcnt lgkmcnt(0)
	s_add_u32 s4, s4, s2
	s_addc_u32 s5, s5, 0
	s_clause 0x6
	global_load_u8 v4, v0, s[4:5] offset:256
	global_load_u8 v5, v0, s[4:5] offset:768
	global_load_u8 v6, v0, s[4:5]
	global_load_u8 v7, v0, s[4:5] offset:512
	global_load_u8 v2, v0, s[4:5] offset:1024
	;; [unrolled: 1-line block ×4, first 2 shown]
	s_waitcnt vmcnt(6)
	v_lshlrev_b16 v4, 8, v4
	s_waitcnt vmcnt(5)
	v_lshlrev_b16 v5, 8, v5
	s_waitcnt vmcnt(4)
	s_delay_alu instid0(VALU_DEP_2) | instskip(SKIP_1) | instid1(VALU_DEP_2)
	v_or_b32_e32 v4, v6, v4
	s_waitcnt vmcnt(3)
	v_or_b32_e32 v5, v7, v5
	v_mul_u32_u24_e32 v6, 6, v0
	s_delay_alu instid0(VALU_DEP_3) | instskip(NEXT) | instid1(VALU_DEP_3)
	v_and_b32_e32 v4, 0xffff, v4
	v_lshlrev_b32_e32 v5, 16, v5
	s_delay_alu instid0(VALU_DEP_1) | instskip(NEXT) | instid1(VALU_DEP_4)
	v_or_b32_e32 v4, v4, v5
	v_add_nc_u32_e32 v5, v0, v6
	.p2align	6
.LBB40_1:                               ; =>This Inner Loop Header: Depth=1
	s_delay_alu instid0(VALU_DEP_2)
	v_lshrrev_b32_e32 v6, 8, v4
	v_lshrrev_b32_e32 v7, 24, v4
	s_add_i32 s3, s3, -1
	ds_store_b8 v0, v4
	ds_store_b8 v0, v6 offset:256
	ds_store_b8_d16_hi v0, v4 offset:512
	ds_store_b8 v0, v7 offset:768
	s_waitcnt vmcnt(2)
	ds_store_b8 v0, v2 offset:1024
	s_waitcnt vmcnt(1)
	;; [unrolled: 2-line block ×3, first 2 shown]
	ds_store_b8 v0, v1 offset:1536
	s_waitcnt lgkmcnt(0)
	s_barrier
	buffer_gl0_inv
	ds_load_b32 v4, v5
	ds_load_u8 v2, v5 offset:4
	ds_load_u8 v3, v5 offset:5
	;; [unrolled: 1-line block ×3, first 2 shown]
	s_cmp_lg_u32 s3, 0
	s_waitcnt lgkmcnt(0)
	s_barrier
	buffer_gl0_inv
	s_cbranch_scc1 .LBB40_1
; %bb.2:
	s_load_b64 s[0:1], s[0:1], 0x10
	v_lshlrev_b16 v3, 8, v3
	v_and_b32_e32 v2, 0xff, v2
	v_mul_u32_u24_e32 v0, 7, v0
	s_delay_alu instid0(VALU_DEP_2)
	v_or_b32_e32 v2, v2, v3
	s_waitcnt lgkmcnt(0)
	s_add_u32 s0, s0, s2
	s_addc_u32 s1, s1, 0
	s_clause 0x2
	global_store_b8 v0, v1, s[0:1] offset:6
	global_store_b16 v0, v2, s[0:1] offset:4
	global_store_b32 v0, v4, s[0:1]
	s_nop 0
	s_sendmsg sendmsg(MSG_DEALLOC_VGPRS)
	s_endpgm
	.section	.rodata,"a",@progbits
	.p2align	6, 0x0
	.amdhsa_kernel _Z6kernelI18striped_to_blockedaLj256ELj7ELj100EEvPKT0_PKjPS1_
		.amdhsa_group_segment_fixed_size 1792
		.amdhsa_private_segment_fixed_size 0
		.amdhsa_kernarg_size 24
		.amdhsa_user_sgpr_count 15
		.amdhsa_user_sgpr_dispatch_ptr 0
		.amdhsa_user_sgpr_queue_ptr 0
		.amdhsa_user_sgpr_kernarg_segment_ptr 1
		.amdhsa_user_sgpr_dispatch_id 0
		.amdhsa_user_sgpr_private_segment_size 0
		.amdhsa_wavefront_size32 1
		.amdhsa_uses_dynamic_stack 0
		.amdhsa_enable_private_segment 0
		.amdhsa_system_sgpr_workgroup_id_x 1
		.amdhsa_system_sgpr_workgroup_id_y 0
		.amdhsa_system_sgpr_workgroup_id_z 0
		.amdhsa_system_sgpr_workgroup_info 0
		.amdhsa_system_vgpr_workitem_id 0
		.amdhsa_next_free_vgpr 8
		.amdhsa_next_free_sgpr 16
		.amdhsa_reserve_vcc 0
		.amdhsa_float_round_mode_32 0
		.amdhsa_float_round_mode_16_64 0
		.amdhsa_float_denorm_mode_32 3
		.amdhsa_float_denorm_mode_16_64 3
		.amdhsa_dx10_clamp 1
		.amdhsa_ieee_mode 1
		.amdhsa_fp16_overflow 0
		.amdhsa_workgroup_processor_mode 1
		.amdhsa_memory_ordered 1
		.amdhsa_forward_progress 0
		.amdhsa_shared_vgpr_count 0
		.amdhsa_exception_fp_ieee_invalid_op 0
		.amdhsa_exception_fp_denorm_src 0
		.amdhsa_exception_fp_ieee_div_zero 0
		.amdhsa_exception_fp_ieee_overflow 0
		.amdhsa_exception_fp_ieee_underflow 0
		.amdhsa_exception_fp_ieee_inexact 0
		.amdhsa_exception_int_div_zero 0
	.end_amdhsa_kernel
	.section	.text._Z6kernelI18striped_to_blockedaLj256ELj7ELj100EEvPKT0_PKjPS1_,"axG",@progbits,_Z6kernelI18striped_to_blockedaLj256ELj7ELj100EEvPKT0_PKjPS1_,comdat
.Lfunc_end40:
	.size	_Z6kernelI18striped_to_blockedaLj256ELj7ELj100EEvPKT0_PKjPS1_, .Lfunc_end40-_Z6kernelI18striped_to_blockedaLj256ELj7ELj100EEvPKT0_PKjPS1_
                                        ; -- End function
	.section	.AMDGPU.csdata,"",@progbits
; Kernel info:
; codeLenInByte = 412
; NumSgprs: 16
; NumVgprs: 8
; ScratchSize: 0
; MemoryBound: 0
; FloatMode: 240
; IeeeMode: 1
; LDSByteSize: 1792 bytes/workgroup (compile time only)
; SGPRBlocks: 1
; VGPRBlocks: 0
; NumSGPRsForWavesPerEU: 16
; NumVGPRsForWavesPerEU: 8
; Occupancy: 16
; WaveLimiterHint : 1
; COMPUTE_PGM_RSRC2:SCRATCH_EN: 0
; COMPUTE_PGM_RSRC2:USER_SGPR: 15
; COMPUTE_PGM_RSRC2:TRAP_HANDLER: 0
; COMPUTE_PGM_RSRC2:TGID_X_EN: 1
; COMPUTE_PGM_RSRC2:TGID_Y_EN: 0
; COMPUTE_PGM_RSRC2:TGID_Z_EN: 0
; COMPUTE_PGM_RSRC2:TIDIG_COMP_CNT: 0
	.section	.text._Z6kernelI18striped_to_blockedaLj256ELj8ELj100EEvPKT0_PKjPS1_,"axG",@progbits,_Z6kernelI18striped_to_blockedaLj256ELj8ELj100EEvPKT0_PKjPS1_,comdat
	.protected	_Z6kernelI18striped_to_blockedaLj256ELj8ELj100EEvPKT0_PKjPS1_ ; -- Begin function _Z6kernelI18striped_to_blockedaLj256ELj8ELj100EEvPKT0_PKjPS1_
	.globl	_Z6kernelI18striped_to_blockedaLj256ELj8ELj100EEvPKT0_PKjPS1_
	.p2align	8
	.type	_Z6kernelI18striped_to_blockedaLj256ELj8ELj100EEvPKT0_PKjPS1_,@function
_Z6kernelI18striped_to_blockedaLj256ELj8ELj100EEvPKT0_PKjPS1_: ; @_Z6kernelI18striped_to_blockedaLj256ELj8ELj100EEvPKT0_PKjPS1_
; %bb.0:
	s_load_b64 s[4:5], s[0:1], 0x0
	s_lshl_b32 s2, s15, 11
	v_lshrrev_b32_e32 v4, 5, v0
	v_or_b32_e32 v5, 0x100, v0
	v_or_b32_e32 v6, 0x200, v0
	;; [unrolled: 1-line block ×7, first 2 shown]
	v_lshrrev_b32_e32 v18, 2, v0
	v_lshlrev_b32_e32 v3, 3, v0
	v_and_b32_e32 v19, 4, v4
	v_lshrrev_b32_e32 v4, 5, v5
	v_lshrrev_b32_e32 v5, 5, v6
	;; [unrolled: 1-line block ×7, first 2 shown]
	s_waitcnt lgkmcnt(0)
	s_add_u32 s4, s4, s2
	s_addc_u32 s5, s5, 0
	v_and_b32_e32 v17, 60, v18
	s_clause 0x7
	global_load_u8 v1, v0, s[4:5] offset:256
	global_load_u8 v2, v0, s[4:5] offset:768
	;; [unrolled: 1-line block ×4, first 2 shown]
	global_load_u8 v9, v0, s[4:5]
	global_load_u8 v10, v0, s[4:5] offset:512
	global_load_u8 v11, v0, s[4:5] offset:1024
	;; [unrolled: 1-line block ×3, first 2 shown]
	v_and_b32_e32 v18, 12, v4
	v_and_b32_e32 v20, 20, v5
	;; [unrolled: 1-line block ×3, first 2 shown]
	v_add_nc_u32_e32 v4, v17, v3
	v_and_b32_e32 v13, 36, v13
	v_and_b32_e32 v14, 44, v14
	;; [unrolled: 1-line block ×4, first 2 shown]
	v_add_nc_u32_e32 v5, v19, v0
	v_add_nc_u32_e32 v6, v18, v0
	s_movk_i32 s3, 0x64
	s_waitcnt vmcnt(7)
	v_lshlrev_b16 v1, 8, v1
	s_waitcnt vmcnt(6)
	v_lshlrev_b16 v2, 8, v2
	;; [unrolled: 2-line block ×4, first 2 shown]
	v_add_nc_u32_e32 v7, v20, v0
	s_waitcnt vmcnt(3)
	v_or_b32_e32 v1, v9, v1
	s_waitcnt vmcnt(2)
	v_or_b32_e32 v2, v10, v2
	;; [unrolled: 2-line block ×4, first 2 shown]
	v_add_nc_u32_e32 v8, v21, v0
	v_and_b32_e32 v1, 0xffff, v1
	v_lshlrev_b32_e32 v2, 16, v2
	v_and_b32_e32 v12, 0xffff, v9
	v_lshlrev_b32_e32 v17, 16, v10
	v_add_nc_u32_e32 v9, v13, v0
	v_add_nc_u32_e32 v10, v14, v0
	;; [unrolled: 1-line block ×3, first 2 shown]
	v_or_b32_e32 v1, v1, v2
	v_or_b32_e32 v2, v12, v17
	v_add_nc_u32_e32 v0, v16, v0
	.p2align	6
.LBB41_1:                               ; =>This Inner Loop Header: Depth=1
	s_delay_alu instid0(VALU_DEP_3) | instskip(SKIP_1) | instid1(VALU_DEP_4)
	v_lshrrev_b32_e32 v12, 8, v1
	v_lshrrev_b32_e32 v13, 24, v1
	;; [unrolled: 1-line block ×4, first 2 shown]
	ds_store_b8 v5, v1
	ds_store_b8 v6, v12 offset:256
	ds_store_b8_d16_hi v7, v1 offset:512
	ds_store_b8 v8, v13 offset:768
	ds_store_b8 v9, v2 offset:1024
	;; [unrolled: 1-line block ×3, first 2 shown]
	ds_store_b8_d16_hi v11, v2 offset:1536
	ds_store_b8 v0, v15 offset:1792
	s_waitcnt lgkmcnt(0)
	s_barrier
	buffer_gl0_inv
	ds_load_2addr_b32 v[1:2], v4 offset1:1
	s_add_i32 s3, s3, -1
	s_waitcnt lgkmcnt(0)
	s_cmp_lg_u32 s3, 0
	s_barrier
	buffer_gl0_inv
	s_cbranch_scc1 .LBB41_1
; %bb.2:
	v_lshrrev_b32_e32 v0, 8, v2
	v_lshrrev_b32_e32 v4, 24, v2
	v_lshrrev_b32_e32 v5, 16, v2
	s_load_b64 s[0:1], s[0:1], 0x10
	v_and_b32_e32 v2, 0xff, v2
	v_lshlrev_b16 v0, 8, v0
	v_lshlrev_b16 v4, 8, v4
	v_and_b32_e32 v5, 0xff, v5
	s_delay_alu instid0(VALU_DEP_3) | instskip(NEXT) | instid1(VALU_DEP_2)
	v_or_b32_e32 v0, v2, v0
	v_or_b32_e32 v2, v5, v4
	s_delay_alu instid0(VALU_DEP_2) | instskip(NEXT) | instid1(VALU_DEP_2)
	v_and_b32_e32 v0, 0xffff, v0
	v_lshlrev_b32_e32 v2, 16, v2
	s_delay_alu instid0(VALU_DEP_1)
	v_or_b32_e32 v2, v0, v2
	s_waitcnt lgkmcnt(0)
	s_add_u32 s0, s0, s2
	s_addc_u32 s1, s1, 0
	global_store_b64 v3, v[1:2], s[0:1]
	s_nop 0
	s_sendmsg sendmsg(MSG_DEALLOC_VGPRS)
	s_endpgm
	.section	.rodata,"a",@progbits
	.p2align	6, 0x0
	.amdhsa_kernel _Z6kernelI18striped_to_blockedaLj256ELj8ELj100EEvPKT0_PKjPS1_
		.amdhsa_group_segment_fixed_size 2112
		.amdhsa_private_segment_fixed_size 0
		.amdhsa_kernarg_size 24
		.amdhsa_user_sgpr_count 15
		.amdhsa_user_sgpr_dispatch_ptr 0
		.amdhsa_user_sgpr_queue_ptr 0
		.amdhsa_user_sgpr_kernarg_segment_ptr 1
		.amdhsa_user_sgpr_dispatch_id 0
		.amdhsa_user_sgpr_private_segment_size 0
		.amdhsa_wavefront_size32 1
		.amdhsa_uses_dynamic_stack 0
		.amdhsa_enable_private_segment 0
		.amdhsa_system_sgpr_workgroup_id_x 1
		.amdhsa_system_sgpr_workgroup_id_y 0
		.amdhsa_system_sgpr_workgroup_id_z 0
		.amdhsa_system_sgpr_workgroup_info 0
		.amdhsa_system_vgpr_workitem_id 0
		.amdhsa_next_free_vgpr 22
		.amdhsa_next_free_sgpr 16
		.amdhsa_reserve_vcc 0
		.amdhsa_float_round_mode_32 0
		.amdhsa_float_round_mode_16_64 0
		.amdhsa_float_denorm_mode_32 3
		.amdhsa_float_denorm_mode_16_64 3
		.amdhsa_dx10_clamp 1
		.amdhsa_ieee_mode 1
		.amdhsa_fp16_overflow 0
		.amdhsa_workgroup_processor_mode 1
		.amdhsa_memory_ordered 1
		.amdhsa_forward_progress 0
		.amdhsa_shared_vgpr_count 0
		.amdhsa_exception_fp_ieee_invalid_op 0
		.amdhsa_exception_fp_denorm_src 0
		.amdhsa_exception_fp_ieee_div_zero 0
		.amdhsa_exception_fp_ieee_overflow 0
		.amdhsa_exception_fp_ieee_underflow 0
		.amdhsa_exception_fp_ieee_inexact 0
		.amdhsa_exception_int_div_zero 0
	.end_amdhsa_kernel
	.section	.text._Z6kernelI18striped_to_blockedaLj256ELj8ELj100EEvPKT0_PKjPS1_,"axG",@progbits,_Z6kernelI18striped_to_blockedaLj256ELj8ELj100EEvPKT0_PKjPS1_,comdat
.Lfunc_end41:
	.size	_Z6kernelI18striped_to_blockedaLj256ELj8ELj100EEvPKT0_PKjPS1_, .Lfunc_end41-_Z6kernelI18striped_to_blockedaLj256ELj8ELj100EEvPKT0_PKjPS1_
                                        ; -- End function
	.section	.AMDGPU.csdata,"",@progbits
; Kernel info:
; codeLenInByte = 632
; NumSgprs: 16
; NumVgprs: 22
; ScratchSize: 0
; MemoryBound: 0
; FloatMode: 240
; IeeeMode: 1
; LDSByteSize: 2112 bytes/workgroup (compile time only)
; SGPRBlocks: 1
; VGPRBlocks: 2
; NumSGPRsForWavesPerEU: 16
; NumVGPRsForWavesPerEU: 22
; Occupancy: 16
; WaveLimiterHint : 1
; COMPUTE_PGM_RSRC2:SCRATCH_EN: 0
; COMPUTE_PGM_RSRC2:USER_SGPR: 15
; COMPUTE_PGM_RSRC2:TRAP_HANDLER: 0
; COMPUTE_PGM_RSRC2:TGID_X_EN: 1
; COMPUTE_PGM_RSRC2:TGID_Y_EN: 0
; COMPUTE_PGM_RSRC2:TGID_Z_EN: 0
; COMPUTE_PGM_RSRC2:TIDIG_COMP_CNT: 0
	.section	.text._Z6kernelI18striped_to_blockedxLj256ELj1ELj100EEvPKT0_PKjPS1_,"axG",@progbits,_Z6kernelI18striped_to_blockedxLj256ELj1ELj100EEvPKT0_PKjPS1_,comdat
	.protected	_Z6kernelI18striped_to_blockedxLj256ELj1ELj100EEvPKT0_PKjPS1_ ; -- Begin function _Z6kernelI18striped_to_blockedxLj256ELj1ELj100EEvPKT0_PKjPS1_
	.globl	_Z6kernelI18striped_to_blockedxLj256ELj1ELj100EEvPKT0_PKjPS1_
	.p2align	8
	.type	_Z6kernelI18striped_to_blockedxLj256ELj1ELj100EEvPKT0_PKjPS1_,@function
_Z6kernelI18striped_to_blockedxLj256ELj1ELj100EEvPKT0_PKjPS1_: ; @_Z6kernelI18striped_to_blockedxLj256ELj1ELj100EEvPKT0_PKjPS1_
; %bb.0:
	s_load_b64 s[4:5], s[0:1], 0x0
	s_lshl_b32 s2, s15, 8
	s_mov_b32 s3, 0
	v_lshlrev_b32_e32 v3, 3, v0
	s_lshl_b64 s[2:3], s[2:3], 3
	s_waitcnt lgkmcnt(0)
	s_add_u32 s4, s4, s2
	s_addc_u32 s5, s5, s3
	global_load_b64 v[1:2], v3, s[4:5]
	s_movk_i32 s4, 0x64
.LBB42_1:                               ; =>This Inner Loop Header: Depth=1
	s_waitcnt vmcnt(0)
	ds_store_b64 v3, v[1:2]
	s_waitcnt lgkmcnt(0)
	s_barrier
	buffer_gl0_inv
	ds_load_b64 v[1:2], v3
	s_add_i32 s4, s4, -1
	s_waitcnt lgkmcnt(0)
	s_cmp_lg_u32 s4, 0
	s_barrier
	buffer_gl0_inv
	s_cbranch_scc1 .LBB42_1
; %bb.2:
	s_load_b64 s[0:1], s[0:1], 0x10
	v_lshlrev_b32_e32 v0, 3, v0
	s_waitcnt lgkmcnt(0)
	s_add_u32 s0, s0, s2
	s_addc_u32 s1, s1, s3
	global_store_b64 v0, v[1:2], s[0:1]
	s_nop 0
	s_sendmsg sendmsg(MSG_DEALLOC_VGPRS)
	s_endpgm
	.section	.rodata,"a",@progbits
	.p2align	6, 0x0
	.amdhsa_kernel _Z6kernelI18striped_to_blockedxLj256ELj1ELj100EEvPKT0_PKjPS1_
		.amdhsa_group_segment_fixed_size 2048
		.amdhsa_private_segment_fixed_size 0
		.amdhsa_kernarg_size 24
		.amdhsa_user_sgpr_count 15
		.amdhsa_user_sgpr_dispatch_ptr 0
		.amdhsa_user_sgpr_queue_ptr 0
		.amdhsa_user_sgpr_kernarg_segment_ptr 1
		.amdhsa_user_sgpr_dispatch_id 0
		.amdhsa_user_sgpr_private_segment_size 0
		.amdhsa_wavefront_size32 1
		.amdhsa_uses_dynamic_stack 0
		.amdhsa_enable_private_segment 0
		.amdhsa_system_sgpr_workgroup_id_x 1
		.amdhsa_system_sgpr_workgroup_id_y 0
		.amdhsa_system_sgpr_workgroup_id_z 0
		.amdhsa_system_sgpr_workgroup_info 0
		.amdhsa_system_vgpr_workitem_id 0
		.amdhsa_next_free_vgpr 4
		.amdhsa_next_free_sgpr 16
		.amdhsa_reserve_vcc 0
		.amdhsa_float_round_mode_32 0
		.amdhsa_float_round_mode_16_64 0
		.amdhsa_float_denorm_mode_32 3
		.amdhsa_float_denorm_mode_16_64 3
		.amdhsa_dx10_clamp 1
		.amdhsa_ieee_mode 1
		.amdhsa_fp16_overflow 0
		.amdhsa_workgroup_processor_mode 1
		.amdhsa_memory_ordered 1
		.amdhsa_forward_progress 0
		.amdhsa_shared_vgpr_count 0
		.amdhsa_exception_fp_ieee_invalid_op 0
		.amdhsa_exception_fp_denorm_src 0
		.amdhsa_exception_fp_ieee_div_zero 0
		.amdhsa_exception_fp_ieee_overflow 0
		.amdhsa_exception_fp_ieee_underflow 0
		.amdhsa_exception_fp_ieee_inexact 0
		.amdhsa_exception_int_div_zero 0
	.end_amdhsa_kernel
	.section	.text._Z6kernelI18striped_to_blockedxLj256ELj1ELj100EEvPKT0_PKjPS1_,"axG",@progbits,_Z6kernelI18striped_to_blockedxLj256ELj1ELj100EEvPKT0_PKjPS1_,comdat
.Lfunc_end42:
	.size	_Z6kernelI18striped_to_blockedxLj256ELj1ELj100EEvPKT0_PKjPS1_, .Lfunc_end42-_Z6kernelI18striped_to_blockedxLj256ELj1ELj100EEvPKT0_PKjPS1_
                                        ; -- End function
	.section	.AMDGPU.csdata,"",@progbits
; Kernel info:
; codeLenInByte = 156
; NumSgprs: 16
; NumVgprs: 4
; ScratchSize: 0
; MemoryBound: 0
; FloatMode: 240
; IeeeMode: 1
; LDSByteSize: 2048 bytes/workgroup (compile time only)
; SGPRBlocks: 1
; VGPRBlocks: 0
; NumSGPRsForWavesPerEU: 16
; NumVGPRsForWavesPerEU: 4
; Occupancy: 16
; WaveLimiterHint : 0
; COMPUTE_PGM_RSRC2:SCRATCH_EN: 0
; COMPUTE_PGM_RSRC2:USER_SGPR: 15
; COMPUTE_PGM_RSRC2:TRAP_HANDLER: 0
; COMPUTE_PGM_RSRC2:TGID_X_EN: 1
; COMPUTE_PGM_RSRC2:TGID_Y_EN: 0
; COMPUTE_PGM_RSRC2:TGID_Z_EN: 0
; COMPUTE_PGM_RSRC2:TIDIG_COMP_CNT: 0
	.section	.text._Z6kernelI18striped_to_blockedxLj256ELj2ELj100EEvPKT0_PKjPS1_,"axG",@progbits,_Z6kernelI18striped_to_blockedxLj256ELj2ELj100EEvPKT0_PKjPS1_,comdat
	.protected	_Z6kernelI18striped_to_blockedxLj256ELj2ELj100EEvPKT0_PKjPS1_ ; -- Begin function _Z6kernelI18striped_to_blockedxLj256ELj2ELj100EEvPKT0_PKjPS1_
	.globl	_Z6kernelI18striped_to_blockedxLj256ELj2ELj100EEvPKT0_PKjPS1_
	.p2align	8
	.type	_Z6kernelI18striped_to_blockedxLj256ELj2ELj100EEvPKT0_PKjPS1_,@function
_Z6kernelI18striped_to_blockedxLj256ELj2ELj100EEvPKT0_PKjPS1_: ; @_Z6kernelI18striped_to_blockedxLj256ELj2ELj100EEvPKT0_PKjPS1_
; %bb.0:
	s_load_b64 s[4:5], s[0:1], 0x0
	s_mov_b32 s3, 0
	s_lshl_b32 s2, s15, 9
	v_lshlrev_b32_e32 v6, 3, v0
	s_lshl_b64 s[2:3], s[2:3], 3
	v_or_b32_e32 v5, 0x100, v0
	v_lshrrev_b32_e32 v7, 2, v0
	v_lshrrev_b32_e32 v9, 4, v0
	s_delay_alu instid0(VALU_DEP_3) | instskip(NEXT) | instid1(VALU_DEP_3)
	v_lshrrev_b32_e32 v5, 2, v5
	v_and_b32_e32 v7, 56, v7
	s_delay_alu instid0(VALU_DEP_2) | instskip(SKIP_1) | instid1(VALU_DEP_3)
	v_and_b32_e32 v8, 0x78, v5
	v_lshlrev_b32_e32 v5, 1, v0
	v_add_nc_u32_e32 v0, v7, v6
	s_waitcnt lgkmcnt(0)
	s_add_u32 s4, s4, s2
	s_addc_u32 s5, s5, s3
	v_add_lshl_u32 v7, v9, v5, 3
	s_clause 0x1
	global_load_b64 v[1:2], v6, s[4:5]
	global_load_b64 v[3:4], v6, s[4:5] offset:2048
	v_add_nc_u32_e32 v6, v8, v6
	s_movk_i32 s4, 0x64
.LBB43_1:                               ; =>This Inner Loop Header: Depth=1
	s_waitcnt vmcnt(1)
	ds_store_b64 v0, v[1:2]
	s_waitcnt vmcnt(0)
	ds_store_b64 v6, v[3:4] offset:2048
	s_waitcnt lgkmcnt(0)
	s_barrier
	buffer_gl0_inv
	ds_load_2addr_b64 v[1:4], v7 offset1:1
	s_add_i32 s4, s4, -1
	s_waitcnt lgkmcnt(0)
	s_cmp_lg_u32 s4, 0
	s_barrier
	buffer_gl0_inv
	s_cbranch_scc1 .LBB43_1
; %bb.2:
	s_load_b64 s[0:1], s[0:1], 0x10
	v_lshlrev_b32_e32 v0, 3, v5
	s_waitcnt lgkmcnt(0)
	s_add_u32 s0, s0, s2
	s_addc_u32 s1, s1, s3
	global_store_b128 v0, v[1:4], s[0:1]
	s_nop 0
	s_sendmsg sendmsg(MSG_DEALLOC_VGPRS)
	s_endpgm
	.section	.rodata,"a",@progbits
	.p2align	6, 0x0
	.amdhsa_kernel _Z6kernelI18striped_to_blockedxLj256ELj2ELj100EEvPKT0_PKjPS1_
		.amdhsa_group_segment_fixed_size 4224
		.amdhsa_private_segment_fixed_size 0
		.amdhsa_kernarg_size 24
		.amdhsa_user_sgpr_count 15
		.amdhsa_user_sgpr_dispatch_ptr 0
		.amdhsa_user_sgpr_queue_ptr 0
		.amdhsa_user_sgpr_kernarg_segment_ptr 1
		.amdhsa_user_sgpr_dispatch_id 0
		.amdhsa_user_sgpr_private_segment_size 0
		.amdhsa_wavefront_size32 1
		.amdhsa_uses_dynamic_stack 0
		.amdhsa_enable_private_segment 0
		.amdhsa_system_sgpr_workgroup_id_x 1
		.amdhsa_system_sgpr_workgroup_id_y 0
		.amdhsa_system_sgpr_workgroup_id_z 0
		.amdhsa_system_sgpr_workgroup_info 0
		.amdhsa_system_vgpr_workitem_id 0
		.amdhsa_next_free_vgpr 10
		.amdhsa_next_free_sgpr 16
		.amdhsa_reserve_vcc 0
		.amdhsa_float_round_mode_32 0
		.amdhsa_float_round_mode_16_64 0
		.amdhsa_float_denorm_mode_32 3
		.amdhsa_float_denorm_mode_16_64 3
		.amdhsa_dx10_clamp 1
		.amdhsa_ieee_mode 1
		.amdhsa_fp16_overflow 0
		.amdhsa_workgroup_processor_mode 1
		.amdhsa_memory_ordered 1
		.amdhsa_forward_progress 0
		.amdhsa_shared_vgpr_count 0
		.amdhsa_exception_fp_ieee_invalid_op 0
		.amdhsa_exception_fp_denorm_src 0
		.amdhsa_exception_fp_ieee_div_zero 0
		.amdhsa_exception_fp_ieee_overflow 0
		.amdhsa_exception_fp_ieee_underflow 0
		.amdhsa_exception_fp_ieee_inexact 0
		.amdhsa_exception_int_div_zero 0
	.end_amdhsa_kernel
	.section	.text._Z6kernelI18striped_to_blockedxLj256ELj2ELj100EEvPKT0_PKjPS1_,"axG",@progbits,_Z6kernelI18striped_to_blockedxLj256ELj2ELj100EEvPKT0_PKjPS1_,comdat
.Lfunc_end43:
	.size	_Z6kernelI18striped_to_blockedxLj256ELj2ELj100EEvPKT0_PKjPS1_, .Lfunc_end43-_Z6kernelI18striped_to_blockedxLj256ELj2ELj100EEvPKT0_PKjPS1_
                                        ; -- End function
	.section	.AMDGPU.csdata,"",@progbits
; Kernel info:
; codeLenInByte = 240
; NumSgprs: 16
; NumVgprs: 10
; ScratchSize: 0
; MemoryBound: 0
; FloatMode: 240
; IeeeMode: 1
; LDSByteSize: 4224 bytes/workgroup (compile time only)
; SGPRBlocks: 1
; VGPRBlocks: 1
; NumSGPRsForWavesPerEU: 16
; NumVGPRsForWavesPerEU: 10
; Occupancy: 16
; WaveLimiterHint : 1
; COMPUTE_PGM_RSRC2:SCRATCH_EN: 0
; COMPUTE_PGM_RSRC2:USER_SGPR: 15
; COMPUTE_PGM_RSRC2:TRAP_HANDLER: 0
; COMPUTE_PGM_RSRC2:TGID_X_EN: 1
; COMPUTE_PGM_RSRC2:TGID_Y_EN: 0
; COMPUTE_PGM_RSRC2:TGID_Z_EN: 0
; COMPUTE_PGM_RSRC2:TIDIG_COMP_CNT: 0
	.section	.text._Z6kernelI18striped_to_blockedxLj256ELj3ELj100EEvPKT0_PKjPS1_,"axG",@progbits,_Z6kernelI18striped_to_blockedxLj256ELj3ELj100EEvPKT0_PKjPS1_,comdat
	.protected	_Z6kernelI18striped_to_blockedxLj256ELj3ELj100EEvPKT0_PKjPS1_ ; -- Begin function _Z6kernelI18striped_to_blockedxLj256ELj3ELj100EEvPKT0_PKjPS1_
	.globl	_Z6kernelI18striped_to_blockedxLj256ELj3ELj100EEvPKT0_PKjPS1_
	.p2align	8
	.type	_Z6kernelI18striped_to_blockedxLj256ELj3ELj100EEvPKT0_PKjPS1_,@function
_Z6kernelI18striped_to_blockedxLj256ELj3ELj100EEvPKT0_PKjPS1_: ; @_Z6kernelI18striped_to_blockedxLj256ELj3ELj100EEvPKT0_PKjPS1_
; %bb.0:
	s_load_b64 s[4:5], s[0:1], 0x0
	s_mov_b32 s3, 0
	s_mul_i32 s2, s15, 0x300
	v_lshlrev_b32_e32 v7, 3, v0
	s_lshl_b64 s[2:3], s[2:3], 3
	v_lshlrev_b32_e32 v8, 4, v0
	s_delay_alu instid0(VALU_DEP_1) | instskip(SKIP_4) | instid1(VALU_DEP_1)
	v_add_nc_u32_e32 v8, v7, v8
	s_waitcnt lgkmcnt(0)
	s_add_u32 s4, s4, s2
	s_addc_u32 s5, s5, s3
	v_add_co_u32 v1, s6, s4, v7
	v_add_co_ci_u32_e64 v2, null, s5, 0, s6
	s_delay_alu instid0(VALU_DEP_2) | instskip(NEXT) | instid1(VALU_DEP_2)
	v_add_co_u32 v5, vcc_lo, 0x1000, v1
	v_add_co_ci_u32_e32 v6, vcc_lo, 0, v2, vcc_lo
	s_clause 0x2
	global_load_b64 v[1:2], v7, s[4:5]
	global_load_b64 v[3:4], v7, s[4:5] offset:2048
	global_load_b64 v[5:6], v[5:6], off
	s_movk_i32 s4, 0x64
.LBB44_1:                               ; =>This Inner Loop Header: Depth=1
	s_waitcnt vmcnt(1)
	ds_store_2addr_stride64_b64 v7, v[1:2], v[3:4] offset1:4
	s_waitcnt vmcnt(0)
	ds_store_b64 v7, v[5:6] offset:4096
	s_waitcnt lgkmcnt(0)
	s_barrier
	buffer_gl0_inv
	ds_load_2addr_b64 v[1:4], v8 offset1:1
	ds_load_b64 v[5:6], v8 offset:16
	s_add_i32 s4, s4, -1
	s_waitcnt lgkmcnt(0)
	s_cmp_lg_u32 s4, 0
	s_barrier
	buffer_gl0_inv
	s_cbranch_scc1 .LBB44_1
; %bb.2:
	s_load_b64 s[0:1], s[0:1], 0x10
	v_mul_u32_u24_e32 v0, 3, v0
	s_delay_alu instid0(VALU_DEP_1)
	v_lshlrev_b32_e32 v0, 3, v0
	s_waitcnt lgkmcnt(0)
	s_add_u32 s0, s0, s2
	s_addc_u32 s1, s1, s3
	s_clause 0x1
	global_store_b128 v0, v[1:4], s[0:1]
	global_store_b64 v0, v[5:6], s[0:1] offset:16
	s_nop 0
	s_sendmsg sendmsg(MSG_DEALLOC_VGPRS)
	s_endpgm
	.section	.rodata,"a",@progbits
	.p2align	6, 0x0
	.amdhsa_kernel _Z6kernelI18striped_to_blockedxLj256ELj3ELj100EEvPKT0_PKjPS1_
		.amdhsa_group_segment_fixed_size 6144
		.amdhsa_private_segment_fixed_size 0
		.amdhsa_kernarg_size 24
		.amdhsa_user_sgpr_count 15
		.amdhsa_user_sgpr_dispatch_ptr 0
		.amdhsa_user_sgpr_queue_ptr 0
		.amdhsa_user_sgpr_kernarg_segment_ptr 1
		.amdhsa_user_sgpr_dispatch_id 0
		.amdhsa_user_sgpr_private_segment_size 0
		.amdhsa_wavefront_size32 1
		.amdhsa_uses_dynamic_stack 0
		.amdhsa_enable_private_segment 0
		.amdhsa_system_sgpr_workgroup_id_x 1
		.amdhsa_system_sgpr_workgroup_id_y 0
		.amdhsa_system_sgpr_workgroup_id_z 0
		.amdhsa_system_sgpr_workgroup_info 0
		.amdhsa_system_vgpr_workitem_id 0
		.amdhsa_next_free_vgpr 9
		.amdhsa_next_free_sgpr 16
		.amdhsa_reserve_vcc 1
		.amdhsa_float_round_mode_32 0
		.amdhsa_float_round_mode_16_64 0
		.amdhsa_float_denorm_mode_32 3
		.amdhsa_float_denorm_mode_16_64 3
		.amdhsa_dx10_clamp 1
		.amdhsa_ieee_mode 1
		.amdhsa_fp16_overflow 0
		.amdhsa_workgroup_processor_mode 1
		.amdhsa_memory_ordered 1
		.amdhsa_forward_progress 0
		.amdhsa_shared_vgpr_count 0
		.amdhsa_exception_fp_ieee_invalid_op 0
		.amdhsa_exception_fp_denorm_src 0
		.amdhsa_exception_fp_ieee_div_zero 0
		.amdhsa_exception_fp_ieee_overflow 0
		.amdhsa_exception_fp_ieee_underflow 0
		.amdhsa_exception_fp_ieee_inexact 0
		.amdhsa_exception_int_div_zero 0
	.end_amdhsa_kernel
	.section	.text._Z6kernelI18striped_to_blockedxLj256ELj3ELj100EEvPKT0_PKjPS1_,"axG",@progbits,_Z6kernelI18striped_to_blockedxLj256ELj3ELj100EEvPKT0_PKjPS1_,comdat
.Lfunc_end44:
	.size	_Z6kernelI18striped_to_blockedxLj256ELj3ELj100EEvPKT0_PKjPS1_, .Lfunc_end44-_Z6kernelI18striped_to_blockedxLj256ELj3ELj100EEvPKT0_PKjPS1_
                                        ; -- End function
	.section	.AMDGPU.csdata,"",@progbits
; Kernel info:
; codeLenInByte = 268
; NumSgprs: 18
; NumVgprs: 9
; ScratchSize: 0
; MemoryBound: 0
; FloatMode: 240
; IeeeMode: 1
; LDSByteSize: 6144 bytes/workgroup (compile time only)
; SGPRBlocks: 2
; VGPRBlocks: 1
; NumSGPRsForWavesPerEU: 18
; NumVGPRsForWavesPerEU: 9
; Occupancy: 16
; WaveLimiterHint : 1
; COMPUTE_PGM_RSRC2:SCRATCH_EN: 0
; COMPUTE_PGM_RSRC2:USER_SGPR: 15
; COMPUTE_PGM_RSRC2:TRAP_HANDLER: 0
; COMPUTE_PGM_RSRC2:TGID_X_EN: 1
; COMPUTE_PGM_RSRC2:TGID_Y_EN: 0
; COMPUTE_PGM_RSRC2:TGID_Z_EN: 0
; COMPUTE_PGM_RSRC2:TIDIG_COMP_CNT: 0
	.section	.text._Z6kernelI18striped_to_blockedxLj256ELj4ELj100EEvPKT0_PKjPS1_,"axG",@progbits,_Z6kernelI18striped_to_blockedxLj256ELj4ELj100EEvPKT0_PKjPS1_,comdat
	.protected	_Z6kernelI18striped_to_blockedxLj256ELj4ELj100EEvPKT0_PKjPS1_ ; -- Begin function _Z6kernelI18striped_to_blockedxLj256ELj4ELj100EEvPKT0_PKjPS1_
	.globl	_Z6kernelI18striped_to_blockedxLj256ELj4ELj100EEvPKT0_PKjPS1_
	.p2align	8
	.type	_Z6kernelI18striped_to_blockedxLj256ELj4ELj100EEvPKT0_PKjPS1_,@function
_Z6kernelI18striped_to_blockedxLj256ELj4ELj100EEvPKT0_PKjPS1_: ; @_Z6kernelI18striped_to_blockedxLj256ELj4ELj100EEvPKT0_PKjPS1_
; %bb.0:
	s_load_b64 s[4:5], s[0:1], 0x0
	s_mov_b32 s3, 0
	s_lshl_b32 s2, s15, 10
	v_lshlrev_b32_e32 v12, 3, v0
	s_lshl_b64 s[2:3], s[2:3], 3
	v_or_b32_e32 v9, 0x100, v0
	v_or_b32_e32 v10, 0x200, v0
	;; [unrolled: 1-line block ×3, first 2 shown]
	v_lshrrev_b32_e32 v13, 2, v0
	v_lshrrev_b32_e32 v17, 3, v0
	;; [unrolled: 1-line block ×5, first 2 shown]
	v_and_b32_e32 v13, 56, v13
	s_delay_alu instid0(VALU_DEP_4) | instskip(NEXT) | instid1(VALU_DEP_4)
	v_and_b32_e32 v14, 0x78, v9
	v_and_b32_e32 v15, 0xb8, v10
	s_delay_alu instid0(VALU_DEP_4)
	v_and_b32_e32 v16, 0xf8, v11
	v_lshlrev_b32_e32 v9, 2, v0
	v_add_nc_u32_e32 v0, v13, v12
	s_waitcnt lgkmcnt(0)
	s_add_u32 s4, s4, s2
	s_addc_u32 s5, s5, s3
	v_add_co_u32 v1, s6, s4, v12
	s_delay_alu instid0(VALU_DEP_1) | instskip(SKIP_1) | instid1(VALU_DEP_3)
	v_add_co_ci_u32_e64 v2, null, s5, 0, s6
	v_add_nc_u32_e32 v10, v14, v12
	v_add_co_u32 v7, vcc_lo, 0x1000, v1
	s_delay_alu instid0(VALU_DEP_3)
	v_add_co_ci_u32_e32 v8, vcc_lo, 0, v2, vcc_lo
	v_add_nc_u32_e32 v11, v15, v12
	s_clause 0x3
	global_load_b64 v[1:2], v12, s[4:5]
	global_load_b64 v[3:4], v12, s[4:5] offset:2048
	global_load_b64 v[5:6], v[7:8], off
	global_load_b64 v[7:8], v[7:8], off offset:2048
	v_add_nc_u32_e32 v12, v16, v12
	v_add_lshl_u32 v13, v17, v9, 3
	s_movk_i32 s4, 0x64
	.p2align	6
.LBB45_1:                               ; =>This Inner Loop Header: Depth=1
	s_waitcnt vmcnt(3)
	ds_store_b64 v0, v[1:2]
	s_waitcnt vmcnt(2)
	ds_store_b64 v10, v[3:4] offset:2048
	s_waitcnt vmcnt(1)
	ds_store_b64 v11, v[5:6] offset:4096
	;; [unrolled: 2-line block ×3, first 2 shown]
	s_waitcnt lgkmcnt(0)
	s_barrier
	buffer_gl0_inv
	ds_load_2addr_b64 v[1:4], v13 offset1:1
	ds_load_2addr_b64 v[5:8], v13 offset0:2 offset1:3
	s_add_i32 s4, s4, -1
	s_waitcnt lgkmcnt(0)
	s_cmp_lg_u32 s4, 0
	s_barrier
	buffer_gl0_inv
	s_cbranch_scc1 .LBB45_1
; %bb.2:
	s_load_b64 s[0:1], s[0:1], 0x10
	v_lshlrev_b32_e32 v0, 3, v9
	s_waitcnt lgkmcnt(0)
	s_add_u32 s0, s0, s2
	s_addc_u32 s1, s1, s3
	s_clause 0x1
	global_store_b128 v0, v[1:4], s[0:1]
	global_store_b128 v0, v[5:8], s[0:1] offset:16
	s_nop 0
	s_sendmsg sendmsg(MSG_DEALLOC_VGPRS)
	s_endpgm
	.section	.rodata,"a",@progbits
	.p2align	6, 0x0
	.amdhsa_kernel _Z6kernelI18striped_to_blockedxLj256ELj4ELj100EEvPKT0_PKjPS1_
		.amdhsa_group_segment_fixed_size 8448
		.amdhsa_private_segment_fixed_size 0
		.amdhsa_kernarg_size 24
		.amdhsa_user_sgpr_count 15
		.amdhsa_user_sgpr_dispatch_ptr 0
		.amdhsa_user_sgpr_queue_ptr 0
		.amdhsa_user_sgpr_kernarg_segment_ptr 1
		.amdhsa_user_sgpr_dispatch_id 0
		.amdhsa_user_sgpr_private_segment_size 0
		.amdhsa_wavefront_size32 1
		.amdhsa_uses_dynamic_stack 0
		.amdhsa_enable_private_segment 0
		.amdhsa_system_sgpr_workgroup_id_x 1
		.amdhsa_system_sgpr_workgroup_id_y 0
		.amdhsa_system_sgpr_workgroup_id_z 0
		.amdhsa_system_sgpr_workgroup_info 0
		.amdhsa_system_vgpr_workitem_id 0
		.amdhsa_next_free_vgpr 18
		.amdhsa_next_free_sgpr 16
		.amdhsa_reserve_vcc 1
		.amdhsa_float_round_mode_32 0
		.amdhsa_float_round_mode_16_64 0
		.amdhsa_float_denorm_mode_32 3
		.amdhsa_float_denorm_mode_16_64 3
		.amdhsa_dx10_clamp 1
		.amdhsa_ieee_mode 1
		.amdhsa_fp16_overflow 0
		.amdhsa_workgroup_processor_mode 1
		.amdhsa_memory_ordered 1
		.amdhsa_forward_progress 0
		.amdhsa_shared_vgpr_count 0
		.amdhsa_exception_fp_ieee_invalid_op 0
		.amdhsa_exception_fp_denorm_src 0
		.amdhsa_exception_fp_ieee_div_zero 0
		.amdhsa_exception_fp_ieee_overflow 0
		.amdhsa_exception_fp_ieee_underflow 0
		.amdhsa_exception_fp_ieee_inexact 0
		.amdhsa_exception_int_div_zero 0
	.end_amdhsa_kernel
	.section	.text._Z6kernelI18striped_to_blockedxLj256ELj4ELj100EEvPKT0_PKjPS1_,"axG",@progbits,_Z6kernelI18striped_to_blockedxLj256ELj4ELj100EEvPKT0_PKjPS1_,comdat
.Lfunc_end45:
	.size	_Z6kernelI18striped_to_blockedxLj256ELj4ELj100EEvPKT0_PKjPS1_, .Lfunc_end45-_Z6kernelI18striped_to_blockedxLj256ELj4ELj100EEvPKT0_PKjPS1_
                                        ; -- End function
	.section	.AMDGPU.csdata,"",@progbits
; Kernel info:
; codeLenInByte = 388
; NumSgprs: 18
; NumVgprs: 18
; ScratchSize: 0
; MemoryBound: 0
; FloatMode: 240
; IeeeMode: 1
; LDSByteSize: 8448 bytes/workgroup (compile time only)
; SGPRBlocks: 2
; VGPRBlocks: 2
; NumSGPRsForWavesPerEU: 18
; NumVGPRsForWavesPerEU: 18
; Occupancy: 16
; WaveLimiterHint : 1
; COMPUTE_PGM_RSRC2:SCRATCH_EN: 0
; COMPUTE_PGM_RSRC2:USER_SGPR: 15
; COMPUTE_PGM_RSRC2:TRAP_HANDLER: 0
; COMPUTE_PGM_RSRC2:TGID_X_EN: 1
; COMPUTE_PGM_RSRC2:TGID_Y_EN: 0
; COMPUTE_PGM_RSRC2:TGID_Z_EN: 0
; COMPUTE_PGM_RSRC2:TIDIG_COMP_CNT: 0
	.section	.text._Z6kernelI18striped_to_blockedxLj256ELj7ELj100EEvPKT0_PKjPS1_,"axG",@progbits,_Z6kernelI18striped_to_blockedxLj256ELj7ELj100EEvPKT0_PKjPS1_,comdat
	.protected	_Z6kernelI18striped_to_blockedxLj256ELj7ELj100EEvPKT0_PKjPS1_ ; -- Begin function _Z6kernelI18striped_to_blockedxLj256ELj7ELj100EEvPKT0_PKjPS1_
	.globl	_Z6kernelI18striped_to_blockedxLj256ELj7ELj100EEvPKT0_PKjPS1_
	.p2align	8
	.type	_Z6kernelI18striped_to_blockedxLj256ELj7ELj100EEvPKT0_PKjPS1_,@function
_Z6kernelI18striped_to_blockedxLj256ELj7ELj100EEvPKT0_PKjPS1_: ; @_Z6kernelI18striped_to_blockedxLj256ELj7ELj100EEvPKT0_PKjPS1_
; %bb.0:
	s_load_b64 s[4:5], s[0:1], 0x0
	s_mov_b32 s3, 0
	s_mul_i32 s2, s15, 0x700
	v_lshlrev_b32_e32 v15, 3, v0
	s_lshl_b64 s[2:3], s[2:3], 3
	s_waitcnt lgkmcnt(0)
	s_add_u32 s4, s4, s2
	s_addc_u32 s5, s5, s3
	v_add_co_u32 v1, s6, s4, v15
	s_delay_alu instid0(VALU_DEP_1) | instskip(NEXT) | instid1(VALU_DEP_2)
	v_add_co_ci_u32_e64 v2, null, s5, 0, s6
	v_add_co_u32 v5, vcc_lo, 0x1000, v1
	s_delay_alu instid0(VALU_DEP_2)
	v_add_co_ci_u32_e32 v6, vcc_lo, 0, v2, vcc_lo
	v_add_co_u32 v13, vcc_lo, v1, 0x2000
	v_add_co_ci_u32_e32 v14, vcc_lo, 0, v2, vcc_lo
	v_add_co_u32 v11, vcc_lo, 0x2000, v1
	;; [unrolled: 2-line block ×3, first 2 shown]
	v_add_co_ci_u32_e32 v17, vcc_lo, 0, v2, vcc_lo
	s_clause 0x6
	global_load_b64 v[9:10], v[13:14], off
	global_load_b64 v[1:2], v15, s[4:5]
	global_load_b64 v[3:4], v15, s[4:5] offset:2048
	global_load_b64 v[7:8], v[5:6], off offset:2048
	global_load_b64 v[11:12], v[11:12], off offset:2048
	global_load_b64 v[5:6], v[13:14], off offset:-4096
	global_load_b64 v[13:14], v[16:17], off
	v_mul_u32_u24_e32 v16, 48, v0
	s_movk_i32 s4, 0x64
	s_delay_alu instid0(VALU_DEP_1)
	v_add_nc_u32_e32 v16, v15, v16
	.p2align	6
.LBB46_1:                               ; =>This Inner Loop Header: Depth=1
	s_waitcnt vmcnt(4)
	ds_store_2addr_stride64_b64 v15, v[1:2], v[3:4] offset1:4
	s_waitcnt vmcnt(1)
	ds_store_2addr_stride64_b64 v15, v[5:6], v[7:8] offset0:8 offset1:12
	ds_store_2addr_stride64_b64 v15, v[9:10], v[11:12] offset0:16 offset1:20
	s_waitcnt vmcnt(0)
	ds_store_b64 v15, v[13:14] offset:12288
	s_waitcnt lgkmcnt(0)
	s_barrier
	buffer_gl0_inv
	ds_load_2addr_b64 v[1:4], v16 offset1:1
	ds_load_2addr_b64 v[5:8], v16 offset0:2 offset1:3
	ds_load_2addr_b64 v[9:12], v16 offset0:4 offset1:5
	ds_load_b64 v[13:14], v16 offset:48
	s_add_i32 s4, s4, -1
	s_waitcnt lgkmcnt(0)
	s_cmp_lg_u32 s4, 0
	s_barrier
	buffer_gl0_inv
	s_cbranch_scc1 .LBB46_1
; %bb.2:
	s_load_b64 s[0:1], s[0:1], 0x10
	v_mul_u32_u24_e32 v0, 7, v0
	s_delay_alu instid0(VALU_DEP_1)
	v_lshlrev_b32_e32 v0, 3, v0
	s_waitcnt lgkmcnt(0)
	s_add_u32 s0, s0, s2
	s_addc_u32 s1, s1, s3
	s_clause 0x3
	global_store_b128 v0, v[1:4], s[0:1]
	global_store_b128 v0, v[5:8], s[0:1] offset:16
	global_store_b128 v0, v[9:12], s[0:1] offset:32
	global_store_b64 v0, v[13:14], s[0:1] offset:48
	s_nop 0
	s_sendmsg sendmsg(MSG_DEALLOC_VGPRS)
	s_endpgm
	.section	.rodata,"a",@progbits
	.p2align	6, 0x0
	.amdhsa_kernel _Z6kernelI18striped_to_blockedxLj256ELj7ELj100EEvPKT0_PKjPS1_
		.amdhsa_group_segment_fixed_size 14336
		.amdhsa_private_segment_fixed_size 0
		.amdhsa_kernarg_size 24
		.amdhsa_user_sgpr_count 15
		.amdhsa_user_sgpr_dispatch_ptr 0
		.amdhsa_user_sgpr_queue_ptr 0
		.amdhsa_user_sgpr_kernarg_segment_ptr 1
		.amdhsa_user_sgpr_dispatch_id 0
		.amdhsa_user_sgpr_private_segment_size 0
		.amdhsa_wavefront_size32 1
		.amdhsa_uses_dynamic_stack 0
		.amdhsa_enable_private_segment 0
		.amdhsa_system_sgpr_workgroup_id_x 1
		.amdhsa_system_sgpr_workgroup_id_y 0
		.amdhsa_system_sgpr_workgroup_id_z 0
		.amdhsa_system_sgpr_workgroup_info 0
		.amdhsa_system_vgpr_workitem_id 0
		.amdhsa_next_free_vgpr 18
		.amdhsa_next_free_sgpr 16
		.amdhsa_reserve_vcc 1
		.amdhsa_float_round_mode_32 0
		.amdhsa_float_round_mode_16_64 0
		.amdhsa_float_denorm_mode_32 3
		.amdhsa_float_denorm_mode_16_64 3
		.amdhsa_dx10_clamp 1
		.amdhsa_ieee_mode 1
		.amdhsa_fp16_overflow 0
		.amdhsa_workgroup_processor_mode 1
		.amdhsa_memory_ordered 1
		.amdhsa_forward_progress 0
		.amdhsa_shared_vgpr_count 0
		.amdhsa_exception_fp_ieee_invalid_op 0
		.amdhsa_exception_fp_denorm_src 0
		.amdhsa_exception_fp_ieee_div_zero 0
		.amdhsa_exception_fp_ieee_overflow 0
		.amdhsa_exception_fp_ieee_underflow 0
		.amdhsa_exception_fp_ieee_inexact 0
		.amdhsa_exception_int_div_zero 0
	.end_amdhsa_kernel
	.section	.text._Z6kernelI18striped_to_blockedxLj256ELj7ELj100EEvPKT0_PKjPS1_,"axG",@progbits,_Z6kernelI18striped_to_blockedxLj256ELj7ELj100EEvPKT0_PKjPS1_,comdat
.Lfunc_end46:
	.size	_Z6kernelI18striped_to_blockedxLj256ELj7ELj100EEvPKT0_PKjPS1_, .Lfunc_end46-_Z6kernelI18striped_to_blockedxLj256ELj7ELj100EEvPKT0_PKjPS1_
                                        ; -- End function
	.section	.AMDGPU.csdata,"",@progbits
; Kernel info:
; codeLenInByte = 404
; NumSgprs: 18
; NumVgprs: 18
; ScratchSize: 0
; MemoryBound: 1
; FloatMode: 240
; IeeeMode: 1
; LDSByteSize: 14336 bytes/workgroup (compile time only)
; SGPRBlocks: 2
; VGPRBlocks: 2
; NumSGPRsForWavesPerEU: 18
; NumVGPRsForWavesPerEU: 18
; Occupancy: 16
; WaveLimiterHint : 1
; COMPUTE_PGM_RSRC2:SCRATCH_EN: 0
; COMPUTE_PGM_RSRC2:USER_SGPR: 15
; COMPUTE_PGM_RSRC2:TRAP_HANDLER: 0
; COMPUTE_PGM_RSRC2:TGID_X_EN: 1
; COMPUTE_PGM_RSRC2:TGID_Y_EN: 0
; COMPUTE_PGM_RSRC2:TGID_Z_EN: 0
; COMPUTE_PGM_RSRC2:TIDIG_COMP_CNT: 0
	.section	.text._Z6kernelI18striped_to_blockedxLj256ELj8ELj100EEvPKT0_PKjPS1_,"axG",@progbits,_Z6kernelI18striped_to_blockedxLj256ELj8ELj100EEvPKT0_PKjPS1_,comdat
	.protected	_Z6kernelI18striped_to_blockedxLj256ELj8ELj100EEvPKT0_PKjPS1_ ; -- Begin function _Z6kernelI18striped_to_blockedxLj256ELj8ELj100EEvPKT0_PKjPS1_
	.globl	_Z6kernelI18striped_to_blockedxLj256ELj8ELj100EEvPKT0_PKjPS1_
	.p2align	8
	.type	_Z6kernelI18striped_to_blockedxLj256ELj8ELj100EEvPKT0_PKjPS1_,@function
_Z6kernelI18striped_to_blockedxLj256ELj8ELj100EEvPKT0_PKjPS1_: ; @_Z6kernelI18striped_to_blockedxLj256ELj8ELj100EEvPKT0_PKjPS1_
; %bb.0:
	s_load_b64 s[4:5], s[0:1], 0x0
	s_mov_b32 s3, 0
	s_lshl_b32 s2, s15, 11
	v_lshlrev_b32_e32 v17, 3, v0
	s_lshl_b64 s[2:3], s[2:3], 3
	v_lshrrev_b32_e32 v25, 2, v0
	v_or_b32_e32 v23, 0x500, v0
	v_or_b32_e32 v24, 0x600, v0
	s_delay_alu instid0(VALU_DEP_3) | instskip(NEXT) | instid1(VALU_DEP_3)
	v_and_b32_e32 v20, 56, v25
	v_lshrrev_b32_e32 v23, 2, v23
	s_delay_alu instid0(VALU_DEP_3) | instskip(SKIP_1) | instid1(VALU_DEP_3)
	v_lshrrev_b32_e32 v24, 2, v24
	v_add_lshl_u32 v25, v25, v17, 3
	v_and_b32_e32 v23, 0x178, v23
	s_delay_alu instid0(VALU_DEP_3) | instskip(SKIP_4) | instid1(VALU_DEP_1)
	v_and_b32_e32 v24, 0x1b8, v24
	s_waitcnt lgkmcnt(0)
	s_add_u32 s4, s4, s2
	s_addc_u32 s5, s5, s3
	v_add_co_u32 v1, s6, s4, v17
	v_add_co_ci_u32_e64 v2, null, s5, 0, s6
	s_delay_alu instid0(VALU_DEP_2) | instskip(NEXT) | instid1(VALU_DEP_2)
	v_add_co_u32 v5, vcc_lo, 0x1000, v1
	v_add_co_ci_u32_e32 v6, vcc_lo, 0, v2, vcc_lo
	v_add_co_u32 v15, vcc_lo, v1, 0x2000
	v_add_co_ci_u32_e32 v16, vcc_lo, 0, v2, vcc_lo
	;; [unrolled: 2-line block ×4, first 2 shown]
	s_clause 0x7
	global_load_b64 v[9:10], v[15:16], off
	global_load_b64 v[1:2], v17, s[4:5]
	global_load_b64 v[3:4], v17, s[4:5] offset:2048
	global_load_b64 v[7:8], v[5:6], off offset:2048
	global_load_b64 v[11:12], v[11:12], off offset:2048
	global_load_b64 v[13:14], v[18:19], off
	global_load_b64 v[5:6], v[15:16], off offset:-4096
	global_load_b64 v[15:16], v[18:19], off offset:2048
	v_or_b32_e32 v18, 0x100, v0
	v_or_b32_e32 v19, 0x200, v0
	s_movk_i32 s4, 0x64
	s_delay_alu instid0(VALU_DEP_2) | instskip(NEXT) | instid1(VALU_DEP_2)
	v_lshrrev_b32_e32 v18, 2, v18
	v_lshrrev_b32_e32 v19, 2, v19
	s_delay_alu instid0(VALU_DEP_2) | instskip(NEXT) | instid1(VALU_DEP_2)
	v_and_b32_e32 v21, 0x78, v18
	v_and_b32_e32 v22, 0xb8, v19
	v_add_nc_u32_e32 v18, v20, v17
	s_delay_alu instid0(VALU_DEP_3) | instskip(NEXT) | instid1(VALU_DEP_3)
	v_add_nc_u32_e32 v19, v21, v17
	v_add_nc_u32_e32 v20, v22, v17
	v_or_b32_e32 v21, 0x300, v0
	v_or_b32_e32 v22, 0x400, v0
	;; [unrolled: 1-line block ×3, first 2 shown]
	s_delay_alu instid0(VALU_DEP_3) | instskip(NEXT) | instid1(VALU_DEP_3)
	v_lshrrev_b32_e32 v21, 2, v21
	v_lshrrev_b32_e32 v22, 2, v22
	s_delay_alu instid0(VALU_DEP_3) | instskip(NEXT) | instid1(VALU_DEP_3)
	v_lshrrev_b32_e32 v0, 2, v0
	v_and_b32_e32 v21, 0xf8, v21
	s_delay_alu instid0(VALU_DEP_3) | instskip(NEXT) | instid1(VALU_DEP_3)
	v_and_b32_e32 v22, 0x138, v22
	v_and_b32_e32 v26, 0x1f8, v0
	s_delay_alu instid0(VALU_DEP_3) | instskip(NEXT) | instid1(VALU_DEP_3)
	v_add_nc_u32_e32 v0, v21, v17
	v_add_nc_u32_e32 v21, v22, v17
	;; [unrolled: 1-line block ×5, first 2 shown]
	.p2align	6
.LBB47_1:                               ; =>This Inner Loop Header: Depth=1
	s_waitcnt vmcnt(6)
	ds_store_b64 v18, v[1:2]
	s_waitcnt vmcnt(5)
	ds_store_b64 v19, v[3:4] offset:2048
	s_waitcnt vmcnt(1)
	ds_store_b64 v20, v[5:6] offset:4096
	ds_store_b64 v0, v[7:8] offset:6144
	;; [unrolled: 1-line block ×5, first 2 shown]
	s_waitcnt vmcnt(0)
	ds_store_b64 v24, v[15:16] offset:14336
	s_waitcnt lgkmcnt(0)
	s_barrier
	buffer_gl0_inv
	ds_load_2addr_b64 v[1:4], v25 offset1:1
	ds_load_2addr_b64 v[5:8], v25 offset0:2 offset1:3
	ds_load_2addr_b64 v[9:12], v25 offset0:4 offset1:5
	;; [unrolled: 1-line block ×3, first 2 shown]
	s_add_i32 s4, s4, -1
	s_waitcnt lgkmcnt(0)
	s_cmp_lg_u32 s4, 0
	s_barrier
	buffer_gl0_inv
	s_cbranch_scc1 .LBB47_1
; %bb.2:
	s_load_b64 s[0:1], s[0:1], 0x10
	v_lshlrev_b32_e32 v0, 3, v17
	s_waitcnt lgkmcnt(0)
	s_add_u32 s0, s0, s2
	s_addc_u32 s1, s1, s3
	s_clause 0x3
	global_store_b128 v0, v[1:4], s[0:1]
	global_store_b128 v0, v[5:8], s[0:1] offset:16
	global_store_b128 v0, v[9:12], s[0:1] offset:32
	;; [unrolled: 1-line block ×3, first 2 shown]
	s_nop 0
	s_sendmsg sendmsg(MSG_DEALLOC_VGPRS)
	s_endpgm
	.section	.rodata,"a",@progbits
	.p2align	6, 0x0
	.amdhsa_kernel _Z6kernelI18striped_to_blockedxLj256ELj8ELj100EEvPKT0_PKjPS1_
		.amdhsa_group_segment_fixed_size 16896
		.amdhsa_private_segment_fixed_size 0
		.amdhsa_kernarg_size 24
		.amdhsa_user_sgpr_count 15
		.amdhsa_user_sgpr_dispatch_ptr 0
		.amdhsa_user_sgpr_queue_ptr 0
		.amdhsa_user_sgpr_kernarg_segment_ptr 1
		.amdhsa_user_sgpr_dispatch_id 0
		.amdhsa_user_sgpr_private_segment_size 0
		.amdhsa_wavefront_size32 1
		.amdhsa_uses_dynamic_stack 0
		.amdhsa_enable_private_segment 0
		.amdhsa_system_sgpr_workgroup_id_x 1
		.amdhsa_system_sgpr_workgroup_id_y 0
		.amdhsa_system_sgpr_workgroup_id_z 0
		.amdhsa_system_sgpr_workgroup_info 0
		.amdhsa_system_vgpr_workitem_id 0
		.amdhsa_next_free_vgpr 27
		.amdhsa_next_free_sgpr 16
		.amdhsa_reserve_vcc 1
		.amdhsa_float_round_mode_32 0
		.amdhsa_float_round_mode_16_64 0
		.amdhsa_float_denorm_mode_32 3
		.amdhsa_float_denorm_mode_16_64 3
		.amdhsa_dx10_clamp 1
		.amdhsa_ieee_mode 1
		.amdhsa_fp16_overflow 0
		.amdhsa_workgroup_processor_mode 1
		.amdhsa_memory_ordered 1
		.amdhsa_forward_progress 0
		.amdhsa_shared_vgpr_count 0
		.amdhsa_exception_fp_ieee_invalid_op 0
		.amdhsa_exception_fp_denorm_src 0
		.amdhsa_exception_fp_ieee_div_zero 0
		.amdhsa_exception_fp_ieee_overflow 0
		.amdhsa_exception_fp_ieee_underflow 0
		.amdhsa_exception_fp_ieee_inexact 0
		.amdhsa_exception_int_div_zero 0
	.end_amdhsa_kernel
	.section	.text._Z6kernelI18striped_to_blockedxLj256ELj8ELj100EEvPKT0_PKjPS1_,"axG",@progbits,_Z6kernelI18striped_to_blockedxLj256ELj8ELj100EEvPKT0_PKjPS1_,comdat
.Lfunc_end47:
	.size	_Z6kernelI18striped_to_blockedxLj256ELj8ELj100EEvPKT0_PKjPS1_, .Lfunc_end47-_Z6kernelI18striped_to_blockedxLj256ELj8ELj100EEvPKT0_PKjPS1_
                                        ; -- End function
	.section	.AMDGPU.csdata,"",@progbits
; Kernel info:
; codeLenInByte = 648
; NumSgprs: 18
; NumVgprs: 27
; ScratchSize: 0
; MemoryBound: 0
; FloatMode: 240
; IeeeMode: 1
; LDSByteSize: 16896 bytes/workgroup (compile time only)
; SGPRBlocks: 2
; VGPRBlocks: 3
; NumSGPRsForWavesPerEU: 18
; NumVGPRsForWavesPerEU: 27
; Occupancy: 14
; WaveLimiterHint : 1
; COMPUTE_PGM_RSRC2:SCRATCH_EN: 0
; COMPUTE_PGM_RSRC2:USER_SGPR: 15
; COMPUTE_PGM_RSRC2:TRAP_HANDLER: 0
; COMPUTE_PGM_RSRC2:TGID_X_EN: 1
; COMPUTE_PGM_RSRC2:TGID_Y_EN: 0
; COMPUTE_PGM_RSRC2:TGID_Z_EN: 0
; COMPUTE_PGM_RSRC2:TIDIG_COMP_CNT: 0
	.section	.text._Z6kernelI18striped_to_blockedN15benchmark_utils11custom_typeIffEELj256ELj1ELj100EEvPKT0_PKjPS4_,"axG",@progbits,_Z6kernelI18striped_to_blockedN15benchmark_utils11custom_typeIffEELj256ELj1ELj100EEvPKT0_PKjPS4_,comdat
	.protected	_Z6kernelI18striped_to_blockedN15benchmark_utils11custom_typeIffEELj256ELj1ELj100EEvPKT0_PKjPS4_ ; -- Begin function _Z6kernelI18striped_to_blockedN15benchmark_utils11custom_typeIffEELj256ELj1ELj100EEvPKT0_PKjPS4_
	.globl	_Z6kernelI18striped_to_blockedN15benchmark_utils11custom_typeIffEELj256ELj1ELj100EEvPKT0_PKjPS4_
	.p2align	8
	.type	_Z6kernelI18striped_to_blockedN15benchmark_utils11custom_typeIffEELj256ELj1ELj100EEvPKT0_PKjPS4_,@function
_Z6kernelI18striped_to_blockedN15benchmark_utils11custom_typeIffEELj256ELj1ELj100EEvPKT0_PKjPS4_: ; @_Z6kernelI18striped_to_blockedN15benchmark_utils11custom_typeIffEELj256ELj1ELj100EEvPKT0_PKjPS4_
; %bb.0:
	s_load_b64 s[4:5], s[0:1], 0x0
	s_lshl_b32 s2, s15, 8
	s_mov_b32 s3, 0
	v_lshlrev_b32_e32 v3, 3, v0
	s_lshl_b64 s[2:3], s[2:3], 3
	s_waitcnt lgkmcnt(0)
	s_add_u32 s4, s4, s2
	s_addc_u32 s5, s5, s3
	global_load_b64 v[1:2], v3, s[4:5]
	s_movk_i32 s4, 0x64
.LBB48_1:                               ; =>This Inner Loop Header: Depth=1
	s_waitcnt vmcnt(0)
	ds_store_b64 v3, v[1:2]
	s_waitcnt lgkmcnt(0)
	s_barrier
	buffer_gl0_inv
	ds_load_b64 v[1:2], v3
	s_add_i32 s4, s4, -1
	s_waitcnt lgkmcnt(0)
	s_cmp_lg_u32 s4, 0
	s_barrier
	buffer_gl0_inv
	s_cbranch_scc1 .LBB48_1
; %bb.2:
	s_load_b64 s[0:1], s[0:1], 0x10
	v_lshlrev_b32_e32 v0, 3, v0
	s_waitcnt lgkmcnt(0)
	s_add_u32 s0, s0, s2
	s_addc_u32 s1, s1, s3
	global_store_b64 v0, v[1:2], s[0:1]
	s_nop 0
	s_sendmsg sendmsg(MSG_DEALLOC_VGPRS)
	s_endpgm
	.section	.rodata,"a",@progbits
	.p2align	6, 0x0
	.amdhsa_kernel _Z6kernelI18striped_to_blockedN15benchmark_utils11custom_typeIffEELj256ELj1ELj100EEvPKT0_PKjPS4_
		.amdhsa_group_segment_fixed_size 2048
		.amdhsa_private_segment_fixed_size 0
		.amdhsa_kernarg_size 24
		.amdhsa_user_sgpr_count 15
		.amdhsa_user_sgpr_dispatch_ptr 0
		.amdhsa_user_sgpr_queue_ptr 0
		.amdhsa_user_sgpr_kernarg_segment_ptr 1
		.amdhsa_user_sgpr_dispatch_id 0
		.amdhsa_user_sgpr_private_segment_size 0
		.amdhsa_wavefront_size32 1
		.amdhsa_uses_dynamic_stack 0
		.amdhsa_enable_private_segment 0
		.amdhsa_system_sgpr_workgroup_id_x 1
		.amdhsa_system_sgpr_workgroup_id_y 0
		.amdhsa_system_sgpr_workgroup_id_z 0
		.amdhsa_system_sgpr_workgroup_info 0
		.amdhsa_system_vgpr_workitem_id 0
		.amdhsa_next_free_vgpr 4
		.amdhsa_next_free_sgpr 16
		.amdhsa_reserve_vcc 0
		.amdhsa_float_round_mode_32 0
		.amdhsa_float_round_mode_16_64 0
		.amdhsa_float_denorm_mode_32 3
		.amdhsa_float_denorm_mode_16_64 3
		.amdhsa_dx10_clamp 1
		.amdhsa_ieee_mode 1
		.amdhsa_fp16_overflow 0
		.amdhsa_workgroup_processor_mode 1
		.amdhsa_memory_ordered 1
		.amdhsa_forward_progress 0
		.amdhsa_shared_vgpr_count 0
		.amdhsa_exception_fp_ieee_invalid_op 0
		.amdhsa_exception_fp_denorm_src 0
		.amdhsa_exception_fp_ieee_div_zero 0
		.amdhsa_exception_fp_ieee_overflow 0
		.amdhsa_exception_fp_ieee_underflow 0
		.amdhsa_exception_fp_ieee_inexact 0
		.amdhsa_exception_int_div_zero 0
	.end_amdhsa_kernel
	.section	.text._Z6kernelI18striped_to_blockedN15benchmark_utils11custom_typeIffEELj256ELj1ELj100EEvPKT0_PKjPS4_,"axG",@progbits,_Z6kernelI18striped_to_blockedN15benchmark_utils11custom_typeIffEELj256ELj1ELj100EEvPKT0_PKjPS4_,comdat
.Lfunc_end48:
	.size	_Z6kernelI18striped_to_blockedN15benchmark_utils11custom_typeIffEELj256ELj1ELj100EEvPKT0_PKjPS4_, .Lfunc_end48-_Z6kernelI18striped_to_blockedN15benchmark_utils11custom_typeIffEELj256ELj1ELj100EEvPKT0_PKjPS4_
                                        ; -- End function
	.section	.AMDGPU.csdata,"",@progbits
; Kernel info:
; codeLenInByte = 156
; NumSgprs: 16
; NumVgprs: 4
; ScratchSize: 0
; MemoryBound: 0
; FloatMode: 240
; IeeeMode: 1
; LDSByteSize: 2048 bytes/workgroup (compile time only)
; SGPRBlocks: 1
; VGPRBlocks: 0
; NumSGPRsForWavesPerEU: 16
; NumVGPRsForWavesPerEU: 4
; Occupancy: 16
; WaveLimiterHint : 0
; COMPUTE_PGM_RSRC2:SCRATCH_EN: 0
; COMPUTE_PGM_RSRC2:USER_SGPR: 15
; COMPUTE_PGM_RSRC2:TRAP_HANDLER: 0
; COMPUTE_PGM_RSRC2:TGID_X_EN: 1
; COMPUTE_PGM_RSRC2:TGID_Y_EN: 0
; COMPUTE_PGM_RSRC2:TGID_Z_EN: 0
; COMPUTE_PGM_RSRC2:TIDIG_COMP_CNT: 0
	.section	.text._Z6kernelI18striped_to_blockedN15benchmark_utils11custom_typeIffEELj256ELj2ELj100EEvPKT0_PKjPS4_,"axG",@progbits,_Z6kernelI18striped_to_blockedN15benchmark_utils11custom_typeIffEELj256ELj2ELj100EEvPKT0_PKjPS4_,comdat
	.protected	_Z6kernelI18striped_to_blockedN15benchmark_utils11custom_typeIffEELj256ELj2ELj100EEvPKT0_PKjPS4_ ; -- Begin function _Z6kernelI18striped_to_blockedN15benchmark_utils11custom_typeIffEELj256ELj2ELj100EEvPKT0_PKjPS4_
	.globl	_Z6kernelI18striped_to_blockedN15benchmark_utils11custom_typeIffEELj256ELj2ELj100EEvPKT0_PKjPS4_
	.p2align	8
	.type	_Z6kernelI18striped_to_blockedN15benchmark_utils11custom_typeIffEELj256ELj2ELj100EEvPKT0_PKjPS4_,@function
_Z6kernelI18striped_to_blockedN15benchmark_utils11custom_typeIffEELj256ELj2ELj100EEvPKT0_PKjPS4_: ; @_Z6kernelI18striped_to_blockedN15benchmark_utils11custom_typeIffEELj256ELj2ELj100EEvPKT0_PKjPS4_
; %bb.0:
	s_load_b64 s[4:5], s[0:1], 0x0
	s_mov_b32 s3, 0
	s_lshl_b32 s2, s15, 9
	v_lshlrev_b32_e32 v6, 3, v0
	s_lshl_b64 s[2:3], s[2:3], 3
	v_or_b32_e32 v5, 0x100, v0
	v_lshrrev_b32_e32 v7, 2, v0
	v_lshrrev_b32_e32 v9, 4, v0
	s_delay_alu instid0(VALU_DEP_3) | instskip(NEXT) | instid1(VALU_DEP_3)
	v_lshrrev_b32_e32 v5, 2, v5
	v_and_b32_e32 v7, 56, v7
	s_delay_alu instid0(VALU_DEP_2) | instskip(SKIP_1) | instid1(VALU_DEP_3)
	v_and_b32_e32 v8, 0x78, v5
	v_lshlrev_b32_e32 v5, 1, v0
	v_add_nc_u32_e32 v0, v7, v6
	s_waitcnt lgkmcnt(0)
	s_add_u32 s4, s4, s2
	s_addc_u32 s5, s5, s3
	v_add_lshl_u32 v7, v9, v5, 3
	s_clause 0x1
	global_load_b64 v[1:2], v6, s[4:5]
	global_load_b64 v[3:4], v6, s[4:5] offset:2048
	v_add_nc_u32_e32 v6, v8, v6
	s_movk_i32 s4, 0x64
.LBB49_1:                               ; =>This Inner Loop Header: Depth=1
	s_waitcnt vmcnt(1)
	ds_store_b64 v0, v[1:2]
	s_waitcnt vmcnt(0)
	ds_store_b64 v6, v[3:4] offset:2048
	s_waitcnt lgkmcnt(0)
	s_barrier
	buffer_gl0_inv
	ds_load_2addr_b64 v[1:4], v7 offset1:1
	s_add_i32 s4, s4, -1
	s_waitcnt lgkmcnt(0)
	s_cmp_lg_u32 s4, 0
	s_barrier
	buffer_gl0_inv
	s_cbranch_scc1 .LBB49_1
; %bb.2:
	s_load_b64 s[0:1], s[0:1], 0x10
	v_lshlrev_b32_e32 v0, 3, v5
	s_waitcnt lgkmcnt(0)
	s_add_u32 s0, s0, s2
	s_addc_u32 s1, s1, s3
	global_store_b128 v0, v[1:4], s[0:1]
	s_nop 0
	s_sendmsg sendmsg(MSG_DEALLOC_VGPRS)
	s_endpgm
	.section	.rodata,"a",@progbits
	.p2align	6, 0x0
	.amdhsa_kernel _Z6kernelI18striped_to_blockedN15benchmark_utils11custom_typeIffEELj256ELj2ELj100EEvPKT0_PKjPS4_
		.amdhsa_group_segment_fixed_size 4224
		.amdhsa_private_segment_fixed_size 0
		.amdhsa_kernarg_size 24
		.amdhsa_user_sgpr_count 15
		.amdhsa_user_sgpr_dispatch_ptr 0
		.amdhsa_user_sgpr_queue_ptr 0
		.amdhsa_user_sgpr_kernarg_segment_ptr 1
		.amdhsa_user_sgpr_dispatch_id 0
		.amdhsa_user_sgpr_private_segment_size 0
		.amdhsa_wavefront_size32 1
		.amdhsa_uses_dynamic_stack 0
		.amdhsa_enable_private_segment 0
		.amdhsa_system_sgpr_workgroup_id_x 1
		.amdhsa_system_sgpr_workgroup_id_y 0
		.amdhsa_system_sgpr_workgroup_id_z 0
		.amdhsa_system_sgpr_workgroup_info 0
		.amdhsa_system_vgpr_workitem_id 0
		.amdhsa_next_free_vgpr 10
		.amdhsa_next_free_sgpr 16
		.amdhsa_reserve_vcc 0
		.amdhsa_float_round_mode_32 0
		.amdhsa_float_round_mode_16_64 0
		.amdhsa_float_denorm_mode_32 3
		.amdhsa_float_denorm_mode_16_64 3
		.amdhsa_dx10_clamp 1
		.amdhsa_ieee_mode 1
		.amdhsa_fp16_overflow 0
		.amdhsa_workgroup_processor_mode 1
		.amdhsa_memory_ordered 1
		.amdhsa_forward_progress 0
		.amdhsa_shared_vgpr_count 0
		.amdhsa_exception_fp_ieee_invalid_op 0
		.amdhsa_exception_fp_denorm_src 0
		.amdhsa_exception_fp_ieee_div_zero 0
		.amdhsa_exception_fp_ieee_overflow 0
		.amdhsa_exception_fp_ieee_underflow 0
		.amdhsa_exception_fp_ieee_inexact 0
		.amdhsa_exception_int_div_zero 0
	.end_amdhsa_kernel
	.section	.text._Z6kernelI18striped_to_blockedN15benchmark_utils11custom_typeIffEELj256ELj2ELj100EEvPKT0_PKjPS4_,"axG",@progbits,_Z6kernelI18striped_to_blockedN15benchmark_utils11custom_typeIffEELj256ELj2ELj100EEvPKT0_PKjPS4_,comdat
.Lfunc_end49:
	.size	_Z6kernelI18striped_to_blockedN15benchmark_utils11custom_typeIffEELj256ELj2ELj100EEvPKT0_PKjPS4_, .Lfunc_end49-_Z6kernelI18striped_to_blockedN15benchmark_utils11custom_typeIffEELj256ELj2ELj100EEvPKT0_PKjPS4_
                                        ; -- End function
	.section	.AMDGPU.csdata,"",@progbits
; Kernel info:
; codeLenInByte = 240
; NumSgprs: 16
; NumVgprs: 10
; ScratchSize: 0
; MemoryBound: 0
; FloatMode: 240
; IeeeMode: 1
; LDSByteSize: 4224 bytes/workgroup (compile time only)
; SGPRBlocks: 1
; VGPRBlocks: 1
; NumSGPRsForWavesPerEU: 16
; NumVGPRsForWavesPerEU: 10
; Occupancy: 16
; WaveLimiterHint : 1
; COMPUTE_PGM_RSRC2:SCRATCH_EN: 0
; COMPUTE_PGM_RSRC2:USER_SGPR: 15
; COMPUTE_PGM_RSRC2:TRAP_HANDLER: 0
; COMPUTE_PGM_RSRC2:TGID_X_EN: 1
; COMPUTE_PGM_RSRC2:TGID_Y_EN: 0
; COMPUTE_PGM_RSRC2:TGID_Z_EN: 0
; COMPUTE_PGM_RSRC2:TIDIG_COMP_CNT: 0
	.section	.text._Z6kernelI18striped_to_blockedN15benchmark_utils11custom_typeIffEELj256ELj3ELj100EEvPKT0_PKjPS4_,"axG",@progbits,_Z6kernelI18striped_to_blockedN15benchmark_utils11custom_typeIffEELj256ELj3ELj100EEvPKT0_PKjPS4_,comdat
	.protected	_Z6kernelI18striped_to_blockedN15benchmark_utils11custom_typeIffEELj256ELj3ELj100EEvPKT0_PKjPS4_ ; -- Begin function _Z6kernelI18striped_to_blockedN15benchmark_utils11custom_typeIffEELj256ELj3ELj100EEvPKT0_PKjPS4_
	.globl	_Z6kernelI18striped_to_blockedN15benchmark_utils11custom_typeIffEELj256ELj3ELj100EEvPKT0_PKjPS4_
	.p2align	8
	.type	_Z6kernelI18striped_to_blockedN15benchmark_utils11custom_typeIffEELj256ELj3ELj100EEvPKT0_PKjPS4_,@function
_Z6kernelI18striped_to_blockedN15benchmark_utils11custom_typeIffEELj256ELj3ELj100EEvPKT0_PKjPS4_: ; @_Z6kernelI18striped_to_blockedN15benchmark_utils11custom_typeIffEELj256ELj3ELj100EEvPKT0_PKjPS4_
; %bb.0:
	s_load_b64 s[4:5], s[0:1], 0x0
	s_mov_b32 s3, 0
	s_mul_i32 s2, s15, 0x300
	v_lshlrev_b32_e32 v7, 3, v0
	s_lshl_b64 s[2:3], s[2:3], 3
	v_lshlrev_b32_e32 v8, 4, v0
	s_delay_alu instid0(VALU_DEP_1) | instskip(SKIP_4) | instid1(VALU_DEP_1)
	v_add_nc_u32_e32 v8, v7, v8
	s_waitcnt lgkmcnt(0)
	s_add_u32 s4, s4, s2
	s_addc_u32 s5, s5, s3
	v_add_co_u32 v1, s6, s4, v7
	v_add_co_ci_u32_e64 v2, null, s5, 0, s6
	s_delay_alu instid0(VALU_DEP_2) | instskip(NEXT) | instid1(VALU_DEP_2)
	v_add_co_u32 v5, vcc_lo, 0x1000, v1
	v_add_co_ci_u32_e32 v6, vcc_lo, 0, v2, vcc_lo
	s_clause 0x2
	global_load_b64 v[1:2], v7, s[4:5]
	global_load_b64 v[3:4], v7, s[4:5] offset:2048
	global_load_b64 v[5:6], v[5:6], off
	s_movk_i32 s4, 0x64
.LBB50_1:                               ; =>This Inner Loop Header: Depth=1
	s_waitcnt vmcnt(1)
	ds_store_2addr_stride64_b64 v7, v[1:2], v[3:4] offset1:4
	s_waitcnt vmcnt(0)
	ds_store_b64 v7, v[5:6] offset:4096
	s_waitcnt lgkmcnt(0)
	s_barrier
	buffer_gl0_inv
	ds_load_2addr_b64 v[1:4], v8 offset1:1
	ds_load_b64 v[5:6], v8 offset:16
	s_add_i32 s4, s4, -1
	s_waitcnt lgkmcnt(0)
	s_cmp_lg_u32 s4, 0
	s_barrier
	buffer_gl0_inv
	s_cbranch_scc1 .LBB50_1
; %bb.2:
	s_load_b64 s[0:1], s[0:1], 0x10
	v_mul_u32_u24_e32 v0, 3, v0
	s_delay_alu instid0(VALU_DEP_1)
	v_lshlrev_b32_e32 v0, 3, v0
	s_waitcnt lgkmcnt(0)
	s_add_u32 s0, s0, s2
	s_addc_u32 s1, s1, s3
	s_clause 0x1
	global_store_b128 v0, v[1:4], s[0:1]
	global_store_b64 v0, v[5:6], s[0:1] offset:16
	s_nop 0
	s_sendmsg sendmsg(MSG_DEALLOC_VGPRS)
	s_endpgm
	.section	.rodata,"a",@progbits
	.p2align	6, 0x0
	.amdhsa_kernel _Z6kernelI18striped_to_blockedN15benchmark_utils11custom_typeIffEELj256ELj3ELj100EEvPKT0_PKjPS4_
		.amdhsa_group_segment_fixed_size 6144
		.amdhsa_private_segment_fixed_size 0
		.amdhsa_kernarg_size 24
		.amdhsa_user_sgpr_count 15
		.amdhsa_user_sgpr_dispatch_ptr 0
		.amdhsa_user_sgpr_queue_ptr 0
		.amdhsa_user_sgpr_kernarg_segment_ptr 1
		.amdhsa_user_sgpr_dispatch_id 0
		.amdhsa_user_sgpr_private_segment_size 0
		.amdhsa_wavefront_size32 1
		.amdhsa_uses_dynamic_stack 0
		.amdhsa_enable_private_segment 0
		.amdhsa_system_sgpr_workgroup_id_x 1
		.amdhsa_system_sgpr_workgroup_id_y 0
		.amdhsa_system_sgpr_workgroup_id_z 0
		.amdhsa_system_sgpr_workgroup_info 0
		.amdhsa_system_vgpr_workitem_id 0
		.amdhsa_next_free_vgpr 9
		.amdhsa_next_free_sgpr 16
		.amdhsa_reserve_vcc 1
		.amdhsa_float_round_mode_32 0
		.amdhsa_float_round_mode_16_64 0
		.amdhsa_float_denorm_mode_32 3
		.amdhsa_float_denorm_mode_16_64 3
		.amdhsa_dx10_clamp 1
		.amdhsa_ieee_mode 1
		.amdhsa_fp16_overflow 0
		.amdhsa_workgroup_processor_mode 1
		.amdhsa_memory_ordered 1
		.amdhsa_forward_progress 0
		.amdhsa_shared_vgpr_count 0
		.amdhsa_exception_fp_ieee_invalid_op 0
		.amdhsa_exception_fp_denorm_src 0
		.amdhsa_exception_fp_ieee_div_zero 0
		.amdhsa_exception_fp_ieee_overflow 0
		.amdhsa_exception_fp_ieee_underflow 0
		.amdhsa_exception_fp_ieee_inexact 0
		.amdhsa_exception_int_div_zero 0
	.end_amdhsa_kernel
	.section	.text._Z6kernelI18striped_to_blockedN15benchmark_utils11custom_typeIffEELj256ELj3ELj100EEvPKT0_PKjPS4_,"axG",@progbits,_Z6kernelI18striped_to_blockedN15benchmark_utils11custom_typeIffEELj256ELj3ELj100EEvPKT0_PKjPS4_,comdat
.Lfunc_end50:
	.size	_Z6kernelI18striped_to_blockedN15benchmark_utils11custom_typeIffEELj256ELj3ELj100EEvPKT0_PKjPS4_, .Lfunc_end50-_Z6kernelI18striped_to_blockedN15benchmark_utils11custom_typeIffEELj256ELj3ELj100EEvPKT0_PKjPS4_
                                        ; -- End function
	.section	.AMDGPU.csdata,"",@progbits
; Kernel info:
; codeLenInByte = 268
; NumSgprs: 18
; NumVgprs: 9
; ScratchSize: 0
; MemoryBound: 0
; FloatMode: 240
; IeeeMode: 1
; LDSByteSize: 6144 bytes/workgroup (compile time only)
; SGPRBlocks: 2
; VGPRBlocks: 1
; NumSGPRsForWavesPerEU: 18
; NumVGPRsForWavesPerEU: 9
; Occupancy: 16
; WaveLimiterHint : 1
; COMPUTE_PGM_RSRC2:SCRATCH_EN: 0
; COMPUTE_PGM_RSRC2:USER_SGPR: 15
; COMPUTE_PGM_RSRC2:TRAP_HANDLER: 0
; COMPUTE_PGM_RSRC2:TGID_X_EN: 1
; COMPUTE_PGM_RSRC2:TGID_Y_EN: 0
; COMPUTE_PGM_RSRC2:TGID_Z_EN: 0
; COMPUTE_PGM_RSRC2:TIDIG_COMP_CNT: 0
	.section	.text._Z6kernelI18striped_to_blockedN15benchmark_utils11custom_typeIffEELj256ELj4ELj100EEvPKT0_PKjPS4_,"axG",@progbits,_Z6kernelI18striped_to_blockedN15benchmark_utils11custom_typeIffEELj256ELj4ELj100EEvPKT0_PKjPS4_,comdat
	.protected	_Z6kernelI18striped_to_blockedN15benchmark_utils11custom_typeIffEELj256ELj4ELj100EEvPKT0_PKjPS4_ ; -- Begin function _Z6kernelI18striped_to_blockedN15benchmark_utils11custom_typeIffEELj256ELj4ELj100EEvPKT0_PKjPS4_
	.globl	_Z6kernelI18striped_to_blockedN15benchmark_utils11custom_typeIffEELj256ELj4ELj100EEvPKT0_PKjPS4_
	.p2align	8
	.type	_Z6kernelI18striped_to_blockedN15benchmark_utils11custom_typeIffEELj256ELj4ELj100EEvPKT0_PKjPS4_,@function
_Z6kernelI18striped_to_blockedN15benchmark_utils11custom_typeIffEELj256ELj4ELj100EEvPKT0_PKjPS4_: ; @_Z6kernelI18striped_to_blockedN15benchmark_utils11custom_typeIffEELj256ELj4ELj100EEvPKT0_PKjPS4_
; %bb.0:
	s_load_b64 s[4:5], s[0:1], 0x0
	s_mov_b32 s3, 0
	s_lshl_b32 s2, s15, 10
	v_lshlrev_b32_e32 v12, 3, v0
	s_lshl_b64 s[2:3], s[2:3], 3
	v_or_b32_e32 v9, 0x100, v0
	v_or_b32_e32 v10, 0x200, v0
	;; [unrolled: 1-line block ×3, first 2 shown]
	v_lshrrev_b32_e32 v13, 2, v0
	v_lshrrev_b32_e32 v17, 3, v0
	;; [unrolled: 1-line block ×5, first 2 shown]
	v_and_b32_e32 v13, 56, v13
	s_delay_alu instid0(VALU_DEP_4) | instskip(NEXT) | instid1(VALU_DEP_4)
	v_and_b32_e32 v14, 0x78, v9
	v_and_b32_e32 v15, 0xb8, v10
	s_delay_alu instid0(VALU_DEP_4)
	v_and_b32_e32 v16, 0xf8, v11
	v_lshlrev_b32_e32 v9, 2, v0
	v_add_nc_u32_e32 v0, v13, v12
	s_waitcnt lgkmcnt(0)
	s_add_u32 s4, s4, s2
	s_addc_u32 s5, s5, s3
	v_add_co_u32 v1, s6, s4, v12
	s_delay_alu instid0(VALU_DEP_1) | instskip(SKIP_1) | instid1(VALU_DEP_3)
	v_add_co_ci_u32_e64 v2, null, s5, 0, s6
	v_add_nc_u32_e32 v10, v14, v12
	v_add_co_u32 v3, vcc_lo, 0x1000, v1
	s_delay_alu instid0(VALU_DEP_3)
	v_add_co_ci_u32_e32 v4, vcc_lo, 0, v2, vcc_lo
	v_add_nc_u32_e32 v11, v15, v12
	s_clause 0x3
	global_load_b64 v[5:6], v12, s[4:5]
	global_load_b64 v[7:8], v12, s[4:5] offset:2048
	global_load_b64 v[1:2], v[3:4], off
	global_load_b64 v[3:4], v[3:4], off offset:2048
	v_add_nc_u32_e32 v12, v16, v12
	v_add_lshl_u32 v13, v17, v9, 3
	s_movk_i32 s4, 0x64
	.p2align	6
.LBB51_1:                               ; =>This Inner Loop Header: Depth=1
	s_waitcnt vmcnt(3)
	ds_store_b64 v0, v[5:6]
	s_waitcnt vmcnt(2)
	ds_store_b64 v10, v[7:8] offset:2048
	s_waitcnt vmcnt(1)
	ds_store_b64 v11, v[1:2] offset:4096
	;; [unrolled: 2-line block ×3, first 2 shown]
	s_waitcnt lgkmcnt(0)
	s_barrier
	buffer_gl0_inv
	ds_load_2addr_b64 v[5:8], v13 offset1:1
	ds_load_2addr_b64 v[1:4], v13 offset0:2 offset1:3
	s_add_i32 s4, s4, -1
	s_waitcnt lgkmcnt(0)
	s_cmp_lg_u32 s4, 0
	s_barrier
	buffer_gl0_inv
	s_cbranch_scc1 .LBB51_1
; %bb.2:
	s_load_b64 s[0:1], s[0:1], 0x10
	v_lshlrev_b32_e32 v0, 3, v9
	s_waitcnt lgkmcnt(0)
	s_add_u32 s0, s0, s2
	s_addc_u32 s1, s1, s3
	s_clause 0x1
	global_store_b128 v0, v[5:8], s[0:1]
	global_store_b128 v0, v[1:4], s[0:1] offset:16
	s_nop 0
	s_sendmsg sendmsg(MSG_DEALLOC_VGPRS)
	s_endpgm
	.section	.rodata,"a",@progbits
	.p2align	6, 0x0
	.amdhsa_kernel _Z6kernelI18striped_to_blockedN15benchmark_utils11custom_typeIffEELj256ELj4ELj100EEvPKT0_PKjPS4_
		.amdhsa_group_segment_fixed_size 8448
		.amdhsa_private_segment_fixed_size 0
		.amdhsa_kernarg_size 24
		.amdhsa_user_sgpr_count 15
		.amdhsa_user_sgpr_dispatch_ptr 0
		.amdhsa_user_sgpr_queue_ptr 0
		.amdhsa_user_sgpr_kernarg_segment_ptr 1
		.amdhsa_user_sgpr_dispatch_id 0
		.amdhsa_user_sgpr_private_segment_size 0
		.amdhsa_wavefront_size32 1
		.amdhsa_uses_dynamic_stack 0
		.amdhsa_enable_private_segment 0
		.amdhsa_system_sgpr_workgroup_id_x 1
		.amdhsa_system_sgpr_workgroup_id_y 0
		.amdhsa_system_sgpr_workgroup_id_z 0
		.amdhsa_system_sgpr_workgroup_info 0
		.amdhsa_system_vgpr_workitem_id 0
		.amdhsa_next_free_vgpr 18
		.amdhsa_next_free_sgpr 16
		.amdhsa_reserve_vcc 1
		.amdhsa_float_round_mode_32 0
		.amdhsa_float_round_mode_16_64 0
		.amdhsa_float_denorm_mode_32 3
		.amdhsa_float_denorm_mode_16_64 3
		.amdhsa_dx10_clamp 1
		.amdhsa_ieee_mode 1
		.amdhsa_fp16_overflow 0
		.amdhsa_workgroup_processor_mode 1
		.amdhsa_memory_ordered 1
		.amdhsa_forward_progress 0
		.amdhsa_shared_vgpr_count 0
		.amdhsa_exception_fp_ieee_invalid_op 0
		.amdhsa_exception_fp_denorm_src 0
		.amdhsa_exception_fp_ieee_div_zero 0
		.amdhsa_exception_fp_ieee_overflow 0
		.amdhsa_exception_fp_ieee_underflow 0
		.amdhsa_exception_fp_ieee_inexact 0
		.amdhsa_exception_int_div_zero 0
	.end_amdhsa_kernel
	.section	.text._Z6kernelI18striped_to_blockedN15benchmark_utils11custom_typeIffEELj256ELj4ELj100EEvPKT0_PKjPS4_,"axG",@progbits,_Z6kernelI18striped_to_blockedN15benchmark_utils11custom_typeIffEELj256ELj4ELj100EEvPKT0_PKjPS4_,comdat
.Lfunc_end51:
	.size	_Z6kernelI18striped_to_blockedN15benchmark_utils11custom_typeIffEELj256ELj4ELj100EEvPKT0_PKjPS4_, .Lfunc_end51-_Z6kernelI18striped_to_blockedN15benchmark_utils11custom_typeIffEELj256ELj4ELj100EEvPKT0_PKjPS4_
                                        ; -- End function
	.section	.AMDGPU.csdata,"",@progbits
; Kernel info:
; codeLenInByte = 388
; NumSgprs: 18
; NumVgprs: 18
; ScratchSize: 0
; MemoryBound: 0
; FloatMode: 240
; IeeeMode: 1
; LDSByteSize: 8448 bytes/workgroup (compile time only)
; SGPRBlocks: 2
; VGPRBlocks: 2
; NumSGPRsForWavesPerEU: 18
; NumVGPRsForWavesPerEU: 18
; Occupancy: 16
; WaveLimiterHint : 1
; COMPUTE_PGM_RSRC2:SCRATCH_EN: 0
; COMPUTE_PGM_RSRC2:USER_SGPR: 15
; COMPUTE_PGM_RSRC2:TRAP_HANDLER: 0
; COMPUTE_PGM_RSRC2:TGID_X_EN: 1
; COMPUTE_PGM_RSRC2:TGID_Y_EN: 0
; COMPUTE_PGM_RSRC2:TGID_Z_EN: 0
; COMPUTE_PGM_RSRC2:TIDIG_COMP_CNT: 0
	.section	.text._Z6kernelI18striped_to_blockedN15benchmark_utils11custom_typeIffEELj256ELj7ELj100EEvPKT0_PKjPS4_,"axG",@progbits,_Z6kernelI18striped_to_blockedN15benchmark_utils11custom_typeIffEELj256ELj7ELj100EEvPKT0_PKjPS4_,comdat
	.protected	_Z6kernelI18striped_to_blockedN15benchmark_utils11custom_typeIffEELj256ELj7ELj100EEvPKT0_PKjPS4_ ; -- Begin function _Z6kernelI18striped_to_blockedN15benchmark_utils11custom_typeIffEELj256ELj7ELj100EEvPKT0_PKjPS4_
	.globl	_Z6kernelI18striped_to_blockedN15benchmark_utils11custom_typeIffEELj256ELj7ELj100EEvPKT0_PKjPS4_
	.p2align	8
	.type	_Z6kernelI18striped_to_blockedN15benchmark_utils11custom_typeIffEELj256ELj7ELj100EEvPKT0_PKjPS4_,@function
_Z6kernelI18striped_to_blockedN15benchmark_utils11custom_typeIffEELj256ELj7ELj100EEvPKT0_PKjPS4_: ; @_Z6kernelI18striped_to_blockedN15benchmark_utils11custom_typeIffEELj256ELj7ELj100EEvPKT0_PKjPS4_
; %bb.0:
	s_load_b64 s[4:5], s[0:1], 0x0
	s_mov_b32 s3, 0
	s_mul_i32 s2, s15, 0x700
	v_lshlrev_b32_e32 v15, 3, v0
	s_lshl_b64 s[2:3], s[2:3], 3
	s_waitcnt lgkmcnt(0)
	s_add_u32 s4, s4, s2
	s_addc_u32 s5, s5, s3
	v_add_co_u32 v1, s6, s4, v15
	s_delay_alu instid0(VALU_DEP_1) | instskip(NEXT) | instid1(VALU_DEP_2)
	v_add_co_ci_u32_e64 v2, null, s5, 0, s6
	v_add_co_u32 v3, vcc_lo, 0x1000, v1
	s_delay_alu instid0(VALU_DEP_2)
	v_add_co_ci_u32_e32 v4, vcc_lo, 0, v2, vcc_lo
	v_add_co_u32 v5, vcc_lo, v1, 0x2000
	v_add_co_ci_u32_e32 v6, vcc_lo, 0, v2, vcc_lo
	v_add_co_u32 v13, vcc_lo, 0x2000, v1
	;; [unrolled: 2-line block ×3, first 2 shown]
	v_add_co_ci_u32_e32 v17, vcc_lo, 0, v2, vcc_lo
	s_clause 0x6
	global_load_b64 v[1:2], v[5:6], off
	global_load_b64 v[9:10], v15, s[4:5]
	global_load_b64 v[11:12], v15, s[4:5] offset:2048
	global_load_b64 v[7:8], v[3:4], off offset:2048
	global_load_b64 v[3:4], v[13:14], off offset:2048
	global_load_b64 v[5:6], v[5:6], off offset:-4096
	global_load_b64 v[13:14], v[16:17], off
	v_mul_u32_u24_e32 v16, 48, v0
	s_movk_i32 s4, 0x64
	s_delay_alu instid0(VALU_DEP_1)
	v_add_nc_u32_e32 v16, v15, v16
	.p2align	6
.LBB52_1:                               ; =>This Inner Loop Header: Depth=1
	s_waitcnt vmcnt(4)
	ds_store_2addr_stride64_b64 v15, v[9:10], v[11:12] offset1:4
	s_waitcnt vmcnt(1)
	ds_store_2addr_stride64_b64 v15, v[5:6], v[7:8] offset0:8 offset1:12
	ds_store_2addr_stride64_b64 v15, v[1:2], v[3:4] offset0:16 offset1:20
	s_waitcnt vmcnt(0)
	ds_store_b64 v15, v[13:14] offset:12288
	s_waitcnt lgkmcnt(0)
	s_barrier
	buffer_gl0_inv
	ds_load_2addr_b64 v[9:12], v16 offset1:1
	ds_load_2addr_b64 v[5:8], v16 offset0:2 offset1:3
	ds_load_2addr_b64 v[1:4], v16 offset0:4 offset1:5
	ds_load_b64 v[13:14], v16 offset:48
	s_add_i32 s4, s4, -1
	s_waitcnt lgkmcnt(0)
	s_cmp_lg_u32 s4, 0
	s_barrier
	buffer_gl0_inv
	s_cbranch_scc1 .LBB52_1
; %bb.2:
	s_load_b64 s[0:1], s[0:1], 0x10
	v_mul_u32_u24_e32 v0, 7, v0
	s_delay_alu instid0(VALU_DEP_1)
	v_lshlrev_b32_e32 v0, 3, v0
	s_waitcnt lgkmcnt(0)
	s_add_u32 s0, s0, s2
	s_addc_u32 s1, s1, s3
	s_clause 0x3
	global_store_b128 v0, v[9:12], s[0:1]
	global_store_b128 v0, v[5:8], s[0:1] offset:16
	global_store_b128 v0, v[1:4], s[0:1] offset:32
	global_store_b64 v0, v[13:14], s[0:1] offset:48
	s_nop 0
	s_sendmsg sendmsg(MSG_DEALLOC_VGPRS)
	s_endpgm
	.section	.rodata,"a",@progbits
	.p2align	6, 0x0
	.amdhsa_kernel _Z6kernelI18striped_to_blockedN15benchmark_utils11custom_typeIffEELj256ELj7ELj100EEvPKT0_PKjPS4_
		.amdhsa_group_segment_fixed_size 14336
		.amdhsa_private_segment_fixed_size 0
		.amdhsa_kernarg_size 24
		.amdhsa_user_sgpr_count 15
		.amdhsa_user_sgpr_dispatch_ptr 0
		.amdhsa_user_sgpr_queue_ptr 0
		.amdhsa_user_sgpr_kernarg_segment_ptr 1
		.amdhsa_user_sgpr_dispatch_id 0
		.amdhsa_user_sgpr_private_segment_size 0
		.amdhsa_wavefront_size32 1
		.amdhsa_uses_dynamic_stack 0
		.amdhsa_enable_private_segment 0
		.amdhsa_system_sgpr_workgroup_id_x 1
		.amdhsa_system_sgpr_workgroup_id_y 0
		.amdhsa_system_sgpr_workgroup_id_z 0
		.amdhsa_system_sgpr_workgroup_info 0
		.amdhsa_system_vgpr_workitem_id 0
		.amdhsa_next_free_vgpr 18
		.amdhsa_next_free_sgpr 16
		.amdhsa_reserve_vcc 1
		.amdhsa_float_round_mode_32 0
		.amdhsa_float_round_mode_16_64 0
		.amdhsa_float_denorm_mode_32 3
		.amdhsa_float_denorm_mode_16_64 3
		.amdhsa_dx10_clamp 1
		.amdhsa_ieee_mode 1
		.amdhsa_fp16_overflow 0
		.amdhsa_workgroup_processor_mode 1
		.amdhsa_memory_ordered 1
		.amdhsa_forward_progress 0
		.amdhsa_shared_vgpr_count 0
		.amdhsa_exception_fp_ieee_invalid_op 0
		.amdhsa_exception_fp_denorm_src 0
		.amdhsa_exception_fp_ieee_div_zero 0
		.amdhsa_exception_fp_ieee_overflow 0
		.amdhsa_exception_fp_ieee_underflow 0
		.amdhsa_exception_fp_ieee_inexact 0
		.amdhsa_exception_int_div_zero 0
	.end_amdhsa_kernel
	.section	.text._Z6kernelI18striped_to_blockedN15benchmark_utils11custom_typeIffEELj256ELj7ELj100EEvPKT0_PKjPS4_,"axG",@progbits,_Z6kernelI18striped_to_blockedN15benchmark_utils11custom_typeIffEELj256ELj7ELj100EEvPKT0_PKjPS4_,comdat
.Lfunc_end52:
	.size	_Z6kernelI18striped_to_blockedN15benchmark_utils11custom_typeIffEELj256ELj7ELj100EEvPKT0_PKjPS4_, .Lfunc_end52-_Z6kernelI18striped_to_blockedN15benchmark_utils11custom_typeIffEELj256ELj7ELj100EEvPKT0_PKjPS4_
                                        ; -- End function
	.section	.AMDGPU.csdata,"",@progbits
; Kernel info:
; codeLenInByte = 404
; NumSgprs: 18
; NumVgprs: 18
; ScratchSize: 0
; MemoryBound: 0
; FloatMode: 240
; IeeeMode: 1
; LDSByteSize: 14336 bytes/workgroup (compile time only)
; SGPRBlocks: 2
; VGPRBlocks: 2
; NumSGPRsForWavesPerEU: 18
; NumVGPRsForWavesPerEU: 18
; Occupancy: 16
; WaveLimiterHint : 1
; COMPUTE_PGM_RSRC2:SCRATCH_EN: 0
; COMPUTE_PGM_RSRC2:USER_SGPR: 15
; COMPUTE_PGM_RSRC2:TRAP_HANDLER: 0
; COMPUTE_PGM_RSRC2:TGID_X_EN: 1
; COMPUTE_PGM_RSRC2:TGID_Y_EN: 0
; COMPUTE_PGM_RSRC2:TGID_Z_EN: 0
; COMPUTE_PGM_RSRC2:TIDIG_COMP_CNT: 0
	.section	.text._Z6kernelI18striped_to_blockedN15benchmark_utils11custom_typeIffEELj256ELj8ELj100EEvPKT0_PKjPS4_,"axG",@progbits,_Z6kernelI18striped_to_blockedN15benchmark_utils11custom_typeIffEELj256ELj8ELj100EEvPKT0_PKjPS4_,comdat
	.protected	_Z6kernelI18striped_to_blockedN15benchmark_utils11custom_typeIffEELj256ELj8ELj100EEvPKT0_PKjPS4_ ; -- Begin function _Z6kernelI18striped_to_blockedN15benchmark_utils11custom_typeIffEELj256ELj8ELj100EEvPKT0_PKjPS4_
	.globl	_Z6kernelI18striped_to_blockedN15benchmark_utils11custom_typeIffEELj256ELj8ELj100EEvPKT0_PKjPS4_
	.p2align	8
	.type	_Z6kernelI18striped_to_blockedN15benchmark_utils11custom_typeIffEELj256ELj8ELj100EEvPKT0_PKjPS4_,@function
_Z6kernelI18striped_to_blockedN15benchmark_utils11custom_typeIffEELj256ELj8ELj100EEvPKT0_PKjPS4_: ; @_Z6kernelI18striped_to_blockedN15benchmark_utils11custom_typeIffEELj256ELj8ELj100EEvPKT0_PKjPS4_
; %bb.0:
	s_load_b64 s[4:5], s[0:1], 0x0
	s_mov_b32 s3, 0
	s_lshl_b32 s2, s15, 11
	v_lshlrev_b32_e32 v17, 3, v0
	s_lshl_b64 s[2:3], s[2:3], 3
	v_lshrrev_b32_e32 v25, 2, v0
	v_or_b32_e32 v23, 0x500, v0
	v_or_b32_e32 v24, 0x600, v0
	s_delay_alu instid0(VALU_DEP_3) | instskip(NEXT) | instid1(VALU_DEP_3)
	v_and_b32_e32 v20, 56, v25
	v_lshrrev_b32_e32 v23, 2, v23
	s_delay_alu instid0(VALU_DEP_3) | instskip(SKIP_1) | instid1(VALU_DEP_3)
	v_lshrrev_b32_e32 v24, 2, v24
	v_add_lshl_u32 v25, v25, v17, 3
	v_and_b32_e32 v23, 0x178, v23
	s_delay_alu instid0(VALU_DEP_3) | instskip(SKIP_4) | instid1(VALU_DEP_1)
	v_and_b32_e32 v24, 0x1b8, v24
	s_waitcnt lgkmcnt(0)
	s_add_u32 s4, s4, s2
	s_addc_u32 s5, s5, s3
	v_add_co_u32 v1, s6, s4, v17
	v_add_co_ci_u32_e64 v2, null, s5, 0, s6
	s_delay_alu instid0(VALU_DEP_2) | instskip(NEXT) | instid1(VALU_DEP_2)
	v_add_co_u32 v3, vcc_lo, 0x1000, v1
	v_add_co_ci_u32_e32 v4, vcc_lo, 0, v2, vcc_lo
	v_add_co_u32 v7, vcc_lo, v1, 0x2000
	v_add_co_ci_u32_e32 v8, vcc_lo, 0, v2, vcc_lo
	;; [unrolled: 2-line block ×4, first 2 shown]
	s_clause 0x7
	global_load_b64 v[1:2], v[7:8], off
	global_load_b64 v[13:14], v17, s[4:5]
	global_load_b64 v[15:16], v17, s[4:5] offset:2048
	global_load_b64 v[11:12], v[3:4], off offset:2048
	global_load_b64 v[3:4], v[5:6], off offset:2048
	global_load_b64 v[5:6], v[18:19], off
	global_load_b64 v[9:10], v[7:8], off offset:-4096
	global_load_b64 v[7:8], v[18:19], off offset:2048
	v_or_b32_e32 v18, 0x100, v0
	v_or_b32_e32 v19, 0x200, v0
	s_movk_i32 s4, 0x64
	s_delay_alu instid0(VALU_DEP_2) | instskip(NEXT) | instid1(VALU_DEP_2)
	v_lshrrev_b32_e32 v18, 2, v18
	v_lshrrev_b32_e32 v19, 2, v19
	s_delay_alu instid0(VALU_DEP_2) | instskip(NEXT) | instid1(VALU_DEP_2)
	v_and_b32_e32 v21, 0x78, v18
	v_and_b32_e32 v22, 0xb8, v19
	v_add_nc_u32_e32 v18, v20, v17
	s_delay_alu instid0(VALU_DEP_3) | instskip(NEXT) | instid1(VALU_DEP_3)
	v_add_nc_u32_e32 v19, v21, v17
	v_add_nc_u32_e32 v20, v22, v17
	v_or_b32_e32 v21, 0x300, v0
	v_or_b32_e32 v22, 0x400, v0
	;; [unrolled: 1-line block ×3, first 2 shown]
	s_delay_alu instid0(VALU_DEP_3) | instskip(NEXT) | instid1(VALU_DEP_3)
	v_lshrrev_b32_e32 v21, 2, v21
	v_lshrrev_b32_e32 v22, 2, v22
	s_delay_alu instid0(VALU_DEP_3) | instskip(NEXT) | instid1(VALU_DEP_3)
	v_lshrrev_b32_e32 v0, 2, v0
	v_and_b32_e32 v21, 0xf8, v21
	s_delay_alu instid0(VALU_DEP_3) | instskip(NEXT) | instid1(VALU_DEP_3)
	v_and_b32_e32 v22, 0x138, v22
	v_and_b32_e32 v26, 0x1f8, v0
	s_delay_alu instid0(VALU_DEP_3) | instskip(NEXT) | instid1(VALU_DEP_3)
	v_add_nc_u32_e32 v0, v21, v17
	v_add_nc_u32_e32 v21, v22, v17
	;; [unrolled: 1-line block ×5, first 2 shown]
	.p2align	6
.LBB53_1:                               ; =>This Inner Loop Header: Depth=1
	s_waitcnt vmcnt(6)
	ds_store_b64 v18, v[13:14]
	s_waitcnt vmcnt(5)
	ds_store_b64 v19, v[15:16] offset:2048
	s_waitcnt vmcnt(1)
	ds_store_b64 v20, v[9:10] offset:4096
	ds_store_b64 v0, v[11:12] offset:6144
	;; [unrolled: 1-line block ×5, first 2 shown]
	s_waitcnt vmcnt(0)
	ds_store_b64 v24, v[7:8] offset:14336
	s_waitcnt lgkmcnt(0)
	s_barrier
	buffer_gl0_inv
	ds_load_2addr_b64 v[13:16], v25 offset1:1
	ds_load_2addr_b64 v[9:12], v25 offset0:2 offset1:3
	ds_load_2addr_b64 v[1:4], v25 offset0:4 offset1:5
	;; [unrolled: 1-line block ×3, first 2 shown]
	s_add_i32 s4, s4, -1
	s_waitcnt lgkmcnt(0)
	s_cmp_lg_u32 s4, 0
	s_barrier
	buffer_gl0_inv
	s_cbranch_scc1 .LBB53_1
; %bb.2:
	s_load_b64 s[0:1], s[0:1], 0x10
	v_lshlrev_b32_e32 v0, 3, v17
	s_waitcnt lgkmcnt(0)
	s_add_u32 s0, s0, s2
	s_addc_u32 s1, s1, s3
	s_clause 0x3
	global_store_b128 v0, v[13:16], s[0:1]
	global_store_b128 v0, v[9:12], s[0:1] offset:16
	global_store_b128 v0, v[1:4], s[0:1] offset:32
	;; [unrolled: 1-line block ×3, first 2 shown]
	s_nop 0
	s_sendmsg sendmsg(MSG_DEALLOC_VGPRS)
	s_endpgm
	.section	.rodata,"a",@progbits
	.p2align	6, 0x0
	.amdhsa_kernel _Z6kernelI18striped_to_blockedN15benchmark_utils11custom_typeIffEELj256ELj8ELj100EEvPKT0_PKjPS4_
		.amdhsa_group_segment_fixed_size 16896
		.amdhsa_private_segment_fixed_size 0
		.amdhsa_kernarg_size 24
		.amdhsa_user_sgpr_count 15
		.amdhsa_user_sgpr_dispatch_ptr 0
		.amdhsa_user_sgpr_queue_ptr 0
		.amdhsa_user_sgpr_kernarg_segment_ptr 1
		.amdhsa_user_sgpr_dispatch_id 0
		.amdhsa_user_sgpr_private_segment_size 0
		.amdhsa_wavefront_size32 1
		.amdhsa_uses_dynamic_stack 0
		.amdhsa_enable_private_segment 0
		.amdhsa_system_sgpr_workgroup_id_x 1
		.amdhsa_system_sgpr_workgroup_id_y 0
		.amdhsa_system_sgpr_workgroup_id_z 0
		.amdhsa_system_sgpr_workgroup_info 0
		.amdhsa_system_vgpr_workitem_id 0
		.amdhsa_next_free_vgpr 27
		.amdhsa_next_free_sgpr 16
		.amdhsa_reserve_vcc 1
		.amdhsa_float_round_mode_32 0
		.amdhsa_float_round_mode_16_64 0
		.amdhsa_float_denorm_mode_32 3
		.amdhsa_float_denorm_mode_16_64 3
		.amdhsa_dx10_clamp 1
		.amdhsa_ieee_mode 1
		.amdhsa_fp16_overflow 0
		.amdhsa_workgroup_processor_mode 1
		.amdhsa_memory_ordered 1
		.amdhsa_forward_progress 0
		.amdhsa_shared_vgpr_count 0
		.amdhsa_exception_fp_ieee_invalid_op 0
		.amdhsa_exception_fp_denorm_src 0
		.amdhsa_exception_fp_ieee_div_zero 0
		.amdhsa_exception_fp_ieee_overflow 0
		.amdhsa_exception_fp_ieee_underflow 0
		.amdhsa_exception_fp_ieee_inexact 0
		.amdhsa_exception_int_div_zero 0
	.end_amdhsa_kernel
	.section	.text._Z6kernelI18striped_to_blockedN15benchmark_utils11custom_typeIffEELj256ELj8ELj100EEvPKT0_PKjPS4_,"axG",@progbits,_Z6kernelI18striped_to_blockedN15benchmark_utils11custom_typeIffEELj256ELj8ELj100EEvPKT0_PKjPS4_,comdat
.Lfunc_end53:
	.size	_Z6kernelI18striped_to_blockedN15benchmark_utils11custom_typeIffEELj256ELj8ELj100EEvPKT0_PKjPS4_, .Lfunc_end53-_Z6kernelI18striped_to_blockedN15benchmark_utils11custom_typeIffEELj256ELj8ELj100EEvPKT0_PKjPS4_
                                        ; -- End function
	.section	.AMDGPU.csdata,"",@progbits
; Kernel info:
; codeLenInByte = 648
; NumSgprs: 18
; NumVgprs: 27
; ScratchSize: 0
; MemoryBound: 0
; FloatMode: 240
; IeeeMode: 1
; LDSByteSize: 16896 bytes/workgroup (compile time only)
; SGPRBlocks: 2
; VGPRBlocks: 3
; NumSGPRsForWavesPerEU: 18
; NumVGPRsForWavesPerEU: 27
; Occupancy: 14
; WaveLimiterHint : 1
; COMPUTE_PGM_RSRC2:SCRATCH_EN: 0
; COMPUTE_PGM_RSRC2:USER_SGPR: 15
; COMPUTE_PGM_RSRC2:TRAP_HANDLER: 0
; COMPUTE_PGM_RSRC2:TGID_X_EN: 1
; COMPUTE_PGM_RSRC2:TGID_Y_EN: 0
; COMPUTE_PGM_RSRC2:TGID_Z_EN: 0
; COMPUTE_PGM_RSRC2:TIDIG_COMP_CNT: 0
	.section	.text._Z6kernelI18striped_to_blockedN15benchmark_utils11custom_typeIddEELj256ELj1ELj100EEvPKT0_PKjPS4_,"axG",@progbits,_Z6kernelI18striped_to_blockedN15benchmark_utils11custom_typeIddEELj256ELj1ELj100EEvPKT0_PKjPS4_,comdat
	.protected	_Z6kernelI18striped_to_blockedN15benchmark_utils11custom_typeIddEELj256ELj1ELj100EEvPKT0_PKjPS4_ ; -- Begin function _Z6kernelI18striped_to_blockedN15benchmark_utils11custom_typeIddEELj256ELj1ELj100EEvPKT0_PKjPS4_
	.globl	_Z6kernelI18striped_to_blockedN15benchmark_utils11custom_typeIddEELj256ELj1ELj100EEvPKT0_PKjPS4_
	.p2align	8
	.type	_Z6kernelI18striped_to_blockedN15benchmark_utils11custom_typeIddEELj256ELj1ELj100EEvPKT0_PKjPS4_,@function
_Z6kernelI18striped_to_blockedN15benchmark_utils11custom_typeIddEELj256ELj1ELj100EEvPKT0_PKjPS4_: ; @_Z6kernelI18striped_to_blockedN15benchmark_utils11custom_typeIddEELj256ELj1ELj100EEvPKT0_PKjPS4_
; %bb.0:
	s_load_b64 s[4:5], s[0:1], 0x0
	s_lshl_b32 s2, s15, 8
	s_mov_b32 s3, 0
	v_lshlrev_b32_e32 v5, 4, v0
	s_lshl_b64 s[2:3], s[2:3], 4
	s_waitcnt lgkmcnt(0)
	s_add_u32 s4, s4, s2
	s_addc_u32 s5, s5, s3
	global_load_b128 v[1:4], v5, s[4:5]
	s_movk_i32 s4, 0x64
.LBB54_1:                               ; =>This Inner Loop Header: Depth=1
	s_waitcnt vmcnt(0)
	ds_store_b128 v5, v[1:4]
	s_waitcnt lgkmcnt(0)
	s_barrier
	buffer_gl0_inv
	ds_load_b128 v[1:4], v5
	s_add_i32 s4, s4, -1
	s_waitcnt lgkmcnt(0)
	s_cmp_lg_u32 s4, 0
	s_barrier
	buffer_gl0_inv
	s_cbranch_scc1 .LBB54_1
; %bb.2:
	s_load_b64 s[0:1], s[0:1], 0x10
	v_lshlrev_b32_e32 v0, 4, v0
	s_waitcnt lgkmcnt(0)
	s_add_u32 s0, s0, s2
	s_addc_u32 s1, s1, s3
	global_store_b128 v0, v[1:4], s[0:1]
	s_nop 0
	s_sendmsg sendmsg(MSG_DEALLOC_VGPRS)
	s_endpgm
	.section	.rodata,"a",@progbits
	.p2align	6, 0x0
	.amdhsa_kernel _Z6kernelI18striped_to_blockedN15benchmark_utils11custom_typeIddEELj256ELj1ELj100EEvPKT0_PKjPS4_
		.amdhsa_group_segment_fixed_size 4096
		.amdhsa_private_segment_fixed_size 0
		.amdhsa_kernarg_size 24
		.amdhsa_user_sgpr_count 15
		.amdhsa_user_sgpr_dispatch_ptr 0
		.amdhsa_user_sgpr_queue_ptr 0
		.amdhsa_user_sgpr_kernarg_segment_ptr 1
		.amdhsa_user_sgpr_dispatch_id 0
		.amdhsa_user_sgpr_private_segment_size 0
		.amdhsa_wavefront_size32 1
		.amdhsa_uses_dynamic_stack 0
		.amdhsa_enable_private_segment 0
		.amdhsa_system_sgpr_workgroup_id_x 1
		.amdhsa_system_sgpr_workgroup_id_y 0
		.amdhsa_system_sgpr_workgroup_id_z 0
		.amdhsa_system_sgpr_workgroup_info 0
		.amdhsa_system_vgpr_workitem_id 0
		.amdhsa_next_free_vgpr 6
		.amdhsa_next_free_sgpr 16
		.amdhsa_reserve_vcc 0
		.amdhsa_float_round_mode_32 0
		.amdhsa_float_round_mode_16_64 0
		.amdhsa_float_denorm_mode_32 3
		.amdhsa_float_denorm_mode_16_64 3
		.amdhsa_dx10_clamp 1
		.amdhsa_ieee_mode 1
		.amdhsa_fp16_overflow 0
		.amdhsa_workgroup_processor_mode 1
		.amdhsa_memory_ordered 1
		.amdhsa_forward_progress 0
		.amdhsa_shared_vgpr_count 0
		.amdhsa_exception_fp_ieee_invalid_op 0
		.amdhsa_exception_fp_denorm_src 0
		.amdhsa_exception_fp_ieee_div_zero 0
		.amdhsa_exception_fp_ieee_overflow 0
		.amdhsa_exception_fp_ieee_underflow 0
		.amdhsa_exception_fp_ieee_inexact 0
		.amdhsa_exception_int_div_zero 0
	.end_amdhsa_kernel
	.section	.text._Z6kernelI18striped_to_blockedN15benchmark_utils11custom_typeIddEELj256ELj1ELj100EEvPKT0_PKjPS4_,"axG",@progbits,_Z6kernelI18striped_to_blockedN15benchmark_utils11custom_typeIddEELj256ELj1ELj100EEvPKT0_PKjPS4_,comdat
.Lfunc_end54:
	.size	_Z6kernelI18striped_to_blockedN15benchmark_utils11custom_typeIddEELj256ELj1ELj100EEvPKT0_PKjPS4_, .Lfunc_end54-_Z6kernelI18striped_to_blockedN15benchmark_utils11custom_typeIddEELj256ELj1ELj100EEvPKT0_PKjPS4_
                                        ; -- End function
	.section	.AMDGPU.csdata,"",@progbits
; Kernel info:
; codeLenInByte = 156
; NumSgprs: 16
; NumVgprs: 6
; ScratchSize: 0
; MemoryBound: 0
; FloatMode: 240
; IeeeMode: 1
; LDSByteSize: 4096 bytes/workgroup (compile time only)
; SGPRBlocks: 1
; VGPRBlocks: 0
; NumSGPRsForWavesPerEU: 16
; NumVGPRsForWavesPerEU: 6
; Occupancy: 16
; WaveLimiterHint : 0
; COMPUTE_PGM_RSRC2:SCRATCH_EN: 0
; COMPUTE_PGM_RSRC2:USER_SGPR: 15
; COMPUTE_PGM_RSRC2:TRAP_HANDLER: 0
; COMPUTE_PGM_RSRC2:TGID_X_EN: 1
; COMPUTE_PGM_RSRC2:TGID_Y_EN: 0
; COMPUTE_PGM_RSRC2:TGID_Z_EN: 0
; COMPUTE_PGM_RSRC2:TIDIG_COMP_CNT: 0
	.section	.text._Z6kernelI18striped_to_blockedN15benchmark_utils11custom_typeIddEELj256ELj2ELj100EEvPKT0_PKjPS4_,"axG",@progbits,_Z6kernelI18striped_to_blockedN15benchmark_utils11custom_typeIddEELj256ELj2ELj100EEvPKT0_PKjPS4_,comdat
	.protected	_Z6kernelI18striped_to_blockedN15benchmark_utils11custom_typeIddEELj256ELj2ELj100EEvPKT0_PKjPS4_ ; -- Begin function _Z6kernelI18striped_to_blockedN15benchmark_utils11custom_typeIddEELj256ELj2ELj100EEvPKT0_PKjPS4_
	.globl	_Z6kernelI18striped_to_blockedN15benchmark_utils11custom_typeIddEELj256ELj2ELj100EEvPKT0_PKjPS4_
	.p2align	8
	.type	_Z6kernelI18striped_to_blockedN15benchmark_utils11custom_typeIddEELj256ELj2ELj100EEvPKT0_PKjPS4_,@function
_Z6kernelI18striped_to_blockedN15benchmark_utils11custom_typeIddEELj256ELj2ELj100EEvPKT0_PKjPS4_: ; @_Z6kernelI18striped_to_blockedN15benchmark_utils11custom_typeIddEELj256ELj2ELj100EEvPKT0_PKjPS4_
; %bb.0:
	s_load_b64 s[4:5], s[0:1], 0x0
	s_mov_b32 s3, 0
	s_lshl_b32 s2, s15, 9
	v_lshlrev_b32_e32 v10, 4, v0
	s_lshl_b64 s[2:3], s[2:3], 4
	v_or_b32_e32 v9, 0x100, v0
	v_lshrrev_b32_e32 v11, 1, v0
	v_lshrrev_b32_e32 v13, 4, v0
	s_delay_alu instid0(VALU_DEP_3) | instskip(NEXT) | instid1(VALU_DEP_3)
	v_lshrrev_b32_e32 v9, 1, v9
	v_and_b32_e32 v11, 0x70, v11
	s_delay_alu instid0(VALU_DEP_2) | instskip(SKIP_1) | instid1(VALU_DEP_3)
	v_and_b32_e32 v12, 0xf0, v9
	v_lshlrev_b32_e32 v9, 1, v0
	v_add_nc_u32_e32 v0, v11, v10
	s_waitcnt lgkmcnt(0)
	s_add_u32 s4, s4, s2
	s_addc_u32 s5, s5, s3
	v_add_co_u32 v1, s6, s4, v10
	s_delay_alu instid0(VALU_DEP_1) | instskip(SKIP_1) | instid1(VALU_DEP_3)
	v_add_co_ci_u32_e64 v2, null, s5, 0, s6
	v_add_lshl_u32 v11, v13, v9, 4
	v_add_co_u32 v1, vcc_lo, 0x1000, v1
	s_delay_alu instid0(VALU_DEP_3)
	v_add_co_ci_u32_e32 v2, vcc_lo, 0, v2, vcc_lo
	s_clause 0x1
	global_load_b128 v[5:8], v10, s[4:5]
	global_load_b128 v[1:4], v[1:2], off
	v_add_nc_u32_e32 v10, v12, v10
	s_movk_i32 s4, 0x64
.LBB55_1:                               ; =>This Inner Loop Header: Depth=1
	s_waitcnt vmcnt(1)
	ds_store_b128 v0, v[5:8]
	s_waitcnt vmcnt(0)
	ds_store_b128 v10, v[1:4] offset:4096
	s_waitcnt lgkmcnt(0)
	s_barrier
	buffer_gl0_inv
	ds_load_b128 v[5:8], v11
	ds_load_b128 v[1:4], v11 offset:16
	s_add_i32 s4, s4, -1
	s_waitcnt lgkmcnt(0)
	s_cmp_lg_u32 s4, 0
	s_barrier
	buffer_gl0_inv
	s_cbranch_scc1 .LBB55_1
; %bb.2:
	s_load_b64 s[0:1], s[0:1], 0x10
	v_lshlrev_b32_e32 v0, 4, v9
	s_waitcnt lgkmcnt(0)
	s_add_u32 s0, s0, s2
	s_addc_u32 s1, s1, s3
	s_clause 0x1
	global_store_b128 v0, v[5:8], s[0:1]
	global_store_b128 v0, v[1:4], s[0:1] offset:16
	s_nop 0
	s_sendmsg sendmsg(MSG_DEALLOC_VGPRS)
	s_endpgm
	.section	.rodata,"a",@progbits
	.p2align	6, 0x0
	.amdhsa_kernel _Z6kernelI18striped_to_blockedN15benchmark_utils11custom_typeIddEELj256ELj2ELj100EEvPKT0_PKjPS4_
		.amdhsa_group_segment_fixed_size 8448
		.amdhsa_private_segment_fixed_size 0
		.amdhsa_kernarg_size 24
		.amdhsa_user_sgpr_count 15
		.amdhsa_user_sgpr_dispatch_ptr 0
		.amdhsa_user_sgpr_queue_ptr 0
		.amdhsa_user_sgpr_kernarg_segment_ptr 1
		.amdhsa_user_sgpr_dispatch_id 0
		.amdhsa_user_sgpr_private_segment_size 0
		.amdhsa_wavefront_size32 1
		.amdhsa_uses_dynamic_stack 0
		.amdhsa_enable_private_segment 0
		.amdhsa_system_sgpr_workgroup_id_x 1
		.amdhsa_system_sgpr_workgroup_id_y 0
		.amdhsa_system_sgpr_workgroup_id_z 0
		.amdhsa_system_sgpr_workgroup_info 0
		.amdhsa_system_vgpr_workitem_id 0
		.amdhsa_next_free_vgpr 14
		.amdhsa_next_free_sgpr 16
		.amdhsa_reserve_vcc 1
		.amdhsa_float_round_mode_32 0
		.amdhsa_float_round_mode_16_64 0
		.amdhsa_float_denorm_mode_32 3
		.amdhsa_float_denorm_mode_16_64 3
		.amdhsa_dx10_clamp 1
		.amdhsa_ieee_mode 1
		.amdhsa_fp16_overflow 0
		.amdhsa_workgroup_processor_mode 1
		.amdhsa_memory_ordered 1
		.amdhsa_forward_progress 0
		.amdhsa_shared_vgpr_count 0
		.amdhsa_exception_fp_ieee_invalid_op 0
		.amdhsa_exception_fp_denorm_src 0
		.amdhsa_exception_fp_ieee_div_zero 0
		.amdhsa_exception_fp_ieee_overflow 0
		.amdhsa_exception_fp_ieee_underflow 0
		.amdhsa_exception_fp_ieee_inexact 0
		.amdhsa_exception_int_div_zero 0
	.end_amdhsa_kernel
	.section	.text._Z6kernelI18striped_to_blockedN15benchmark_utils11custom_typeIddEELj256ELj2ELj100EEvPKT0_PKjPS4_,"axG",@progbits,_Z6kernelI18striped_to_blockedN15benchmark_utils11custom_typeIddEELj256ELj2ELj100EEvPKT0_PKjPS4_,comdat
.Lfunc_end55:
	.size	_Z6kernelI18striped_to_blockedN15benchmark_utils11custom_typeIddEELj256ELj2ELj100EEvPKT0_PKjPS4_, .Lfunc_end55-_Z6kernelI18striped_to_blockedN15benchmark_utils11custom_typeIddEELj256ELj2ELj100EEvPKT0_PKjPS4_
                                        ; -- End function
	.section	.AMDGPU.csdata,"",@progbits
; Kernel info:
; codeLenInByte = 304
; NumSgprs: 18
; NumVgprs: 14
; ScratchSize: 0
; MemoryBound: 0
; FloatMode: 240
; IeeeMode: 1
; LDSByteSize: 8448 bytes/workgroup (compile time only)
; SGPRBlocks: 2
; VGPRBlocks: 1
; NumSGPRsForWavesPerEU: 18
; NumVGPRsForWavesPerEU: 14
; Occupancy: 16
; WaveLimiterHint : 1
; COMPUTE_PGM_RSRC2:SCRATCH_EN: 0
; COMPUTE_PGM_RSRC2:USER_SGPR: 15
; COMPUTE_PGM_RSRC2:TRAP_HANDLER: 0
; COMPUTE_PGM_RSRC2:TGID_X_EN: 1
; COMPUTE_PGM_RSRC2:TGID_Y_EN: 0
; COMPUTE_PGM_RSRC2:TGID_Z_EN: 0
; COMPUTE_PGM_RSRC2:TIDIG_COMP_CNT: 0
	.section	.text._Z6kernelI18striped_to_blockedN15benchmark_utils11custom_typeIddEELj256ELj3ELj100EEvPKT0_PKjPS4_,"axG",@progbits,_Z6kernelI18striped_to_blockedN15benchmark_utils11custom_typeIddEELj256ELj3ELj100EEvPKT0_PKjPS4_,comdat
	.protected	_Z6kernelI18striped_to_blockedN15benchmark_utils11custom_typeIddEELj256ELj3ELj100EEvPKT0_PKjPS4_ ; -- Begin function _Z6kernelI18striped_to_blockedN15benchmark_utils11custom_typeIddEELj256ELj3ELj100EEvPKT0_PKjPS4_
	.globl	_Z6kernelI18striped_to_blockedN15benchmark_utils11custom_typeIddEELj256ELj3ELj100EEvPKT0_PKjPS4_
	.p2align	8
	.type	_Z6kernelI18striped_to_blockedN15benchmark_utils11custom_typeIddEELj256ELj3ELj100EEvPKT0_PKjPS4_,@function
_Z6kernelI18striped_to_blockedN15benchmark_utils11custom_typeIddEELj256ELj3ELj100EEvPKT0_PKjPS4_: ; @_Z6kernelI18striped_to_blockedN15benchmark_utils11custom_typeIddEELj256ELj3ELj100EEvPKT0_PKjPS4_
; %bb.0:
	s_load_b64 s[4:5], s[0:1], 0x0
	s_mov_b32 s3, 0
	s_mul_i32 s2, s15, 0x300
	v_lshlrev_b32_e32 v13, 4, v0
	s_lshl_b64 s[2:3], s[2:3], 4
	v_lshlrev_b32_e32 v14, 5, v0
	s_delay_alu instid0(VALU_DEP_1) | instskip(SKIP_4) | instid1(VALU_DEP_1)
	v_add_nc_u32_e32 v14, v13, v14
	s_waitcnt lgkmcnt(0)
	s_add_u32 s4, s4, s2
	s_addc_u32 s5, s5, s3
	v_add_co_u32 v1, s6, s4, v13
	v_add_co_ci_u32_e64 v2, null, s5, 0, s6
	s_delay_alu instid0(VALU_DEP_2) | instskip(NEXT) | instid1(VALU_DEP_2)
	v_add_co_u32 v1, vcc_lo, v1, 0x2000
	v_add_co_ci_u32_e32 v2, vcc_lo, 0, v2, vcc_lo
	s_clause 0x2
	global_load_b128 v[9:12], v13, s[4:5]
	global_load_b128 v[5:8], v[1:2], off offset:-4096
	global_load_b128 v[1:4], v[1:2], off
	s_movk_i32 s4, 0x64
	.p2align	6
.LBB56_1:                               ; =>This Inner Loop Header: Depth=1
	s_waitcnt vmcnt(2)
	ds_store_b128 v13, v[9:12]
	s_waitcnt vmcnt(1)
	ds_store_b128 v13, v[5:8] offset:4096
	s_waitcnt vmcnt(0)
	ds_store_b128 v13, v[1:4] offset:8192
	s_waitcnt lgkmcnt(0)
	s_barrier
	buffer_gl0_inv
	ds_load_b128 v[9:12], v14
	ds_load_b128 v[5:8], v14 offset:16
	ds_load_b128 v[1:4], v14 offset:32
	s_add_i32 s4, s4, -1
	s_waitcnt lgkmcnt(0)
	s_cmp_lg_u32 s4, 0
	s_barrier
	buffer_gl0_inv
	s_cbranch_scc1 .LBB56_1
; %bb.2:
	s_load_b64 s[0:1], s[0:1], 0x10
	v_mul_u32_u24_e32 v0, 3, v0
	s_delay_alu instid0(VALU_DEP_1)
	v_lshlrev_b32_e32 v0, 4, v0
	s_waitcnt lgkmcnt(0)
	s_add_u32 s0, s0, s2
	s_addc_u32 s1, s1, s3
	s_clause 0x2
	global_store_b128 v0, v[9:12], s[0:1]
	global_store_b128 v0, v[5:8], s[0:1] offset:16
	global_store_b128 v0, v[1:4], s[0:1] offset:32
	s_nop 0
	s_sendmsg sendmsg(MSG_DEALLOC_VGPRS)
	s_endpgm
	.section	.rodata,"a",@progbits
	.p2align	6, 0x0
	.amdhsa_kernel _Z6kernelI18striped_to_blockedN15benchmark_utils11custom_typeIddEELj256ELj3ELj100EEvPKT0_PKjPS4_
		.amdhsa_group_segment_fixed_size 12288
		.amdhsa_private_segment_fixed_size 0
		.amdhsa_kernarg_size 24
		.amdhsa_user_sgpr_count 15
		.amdhsa_user_sgpr_dispatch_ptr 0
		.amdhsa_user_sgpr_queue_ptr 0
		.amdhsa_user_sgpr_kernarg_segment_ptr 1
		.amdhsa_user_sgpr_dispatch_id 0
		.amdhsa_user_sgpr_private_segment_size 0
		.amdhsa_wavefront_size32 1
		.amdhsa_uses_dynamic_stack 0
		.amdhsa_enable_private_segment 0
		.amdhsa_system_sgpr_workgroup_id_x 1
		.amdhsa_system_sgpr_workgroup_id_y 0
		.amdhsa_system_sgpr_workgroup_id_z 0
		.amdhsa_system_sgpr_workgroup_info 0
		.amdhsa_system_vgpr_workitem_id 0
		.amdhsa_next_free_vgpr 15
		.amdhsa_next_free_sgpr 16
		.amdhsa_reserve_vcc 1
		.amdhsa_float_round_mode_32 0
		.amdhsa_float_round_mode_16_64 0
		.amdhsa_float_denorm_mode_32 3
		.amdhsa_float_denorm_mode_16_64 3
		.amdhsa_dx10_clamp 1
		.amdhsa_ieee_mode 1
		.amdhsa_fp16_overflow 0
		.amdhsa_workgroup_processor_mode 1
		.amdhsa_memory_ordered 1
		.amdhsa_forward_progress 0
		.amdhsa_shared_vgpr_count 0
		.amdhsa_exception_fp_ieee_invalid_op 0
		.amdhsa_exception_fp_denorm_src 0
		.amdhsa_exception_fp_ieee_div_zero 0
		.amdhsa_exception_fp_ieee_overflow 0
		.amdhsa_exception_fp_ieee_underflow 0
		.amdhsa_exception_fp_ieee_inexact 0
		.amdhsa_exception_int_div_zero 0
	.end_amdhsa_kernel
	.section	.text._Z6kernelI18striped_to_blockedN15benchmark_utils11custom_typeIddEELj256ELj3ELj100EEvPKT0_PKjPS4_,"axG",@progbits,_Z6kernelI18striped_to_blockedN15benchmark_utils11custom_typeIddEELj256ELj3ELj100EEvPKT0_PKjPS4_,comdat
.Lfunc_end56:
	.size	_Z6kernelI18striped_to_blockedN15benchmark_utils11custom_typeIddEELj256ELj3ELj100EEvPKT0_PKjPS4_, .Lfunc_end56-_Z6kernelI18striped_to_blockedN15benchmark_utils11custom_typeIddEELj256ELj3ELj100EEvPKT0_PKjPS4_
                                        ; -- End function
	.section	.AMDGPU.csdata,"",@progbits
; Kernel info:
; codeLenInByte = 296
; NumSgprs: 18
; NumVgprs: 15
; ScratchSize: 0
; MemoryBound: 0
; FloatMode: 240
; IeeeMode: 1
; LDSByteSize: 12288 bytes/workgroup (compile time only)
; SGPRBlocks: 2
; VGPRBlocks: 1
; NumSGPRsForWavesPerEU: 18
; NumVGPRsForWavesPerEU: 15
; Occupancy: 16
; WaveLimiterHint : 1
; COMPUTE_PGM_RSRC2:SCRATCH_EN: 0
; COMPUTE_PGM_RSRC2:USER_SGPR: 15
; COMPUTE_PGM_RSRC2:TRAP_HANDLER: 0
; COMPUTE_PGM_RSRC2:TGID_X_EN: 1
; COMPUTE_PGM_RSRC2:TGID_Y_EN: 0
; COMPUTE_PGM_RSRC2:TGID_Z_EN: 0
; COMPUTE_PGM_RSRC2:TIDIG_COMP_CNT: 0
	.section	.text._Z6kernelI18striped_to_blockedN15benchmark_utils11custom_typeIddEELj256ELj4ELj100EEvPKT0_PKjPS4_,"axG",@progbits,_Z6kernelI18striped_to_blockedN15benchmark_utils11custom_typeIddEELj256ELj4ELj100EEvPKT0_PKjPS4_,comdat
	.protected	_Z6kernelI18striped_to_blockedN15benchmark_utils11custom_typeIddEELj256ELj4ELj100EEvPKT0_PKjPS4_ ; -- Begin function _Z6kernelI18striped_to_blockedN15benchmark_utils11custom_typeIddEELj256ELj4ELj100EEvPKT0_PKjPS4_
	.globl	_Z6kernelI18striped_to_blockedN15benchmark_utils11custom_typeIddEELj256ELj4ELj100EEvPKT0_PKjPS4_
	.p2align	8
	.type	_Z6kernelI18striped_to_blockedN15benchmark_utils11custom_typeIddEELj256ELj4ELj100EEvPKT0_PKjPS4_,@function
_Z6kernelI18striped_to_blockedN15benchmark_utils11custom_typeIddEELj256ELj4ELj100EEvPKT0_PKjPS4_: ; @_Z6kernelI18striped_to_blockedN15benchmark_utils11custom_typeIddEELj256ELj4ELj100EEvPKT0_PKjPS4_
; %bb.0:
	s_load_b64 s[4:5], s[0:1], 0x0
	s_mov_b32 s3, 0
	s_lshl_b32 s2, s15, 10
	v_lshlrev_b32_e32 v20, 4, v0
	s_lshl_b64 s[2:3], s[2:3], 4
	v_or_b32_e32 v17, 0x100, v0
	v_or_b32_e32 v18, 0x200, v0
	;; [unrolled: 1-line block ×3, first 2 shown]
	v_lshrrev_b32_e32 v21, 1, v0
	v_lshrrev_b32_e32 v25, 3, v0
	;; [unrolled: 1-line block ×5, first 2 shown]
	v_and_b32_e32 v21, 0x70, v21
	s_delay_alu instid0(VALU_DEP_4) | instskip(NEXT) | instid1(VALU_DEP_4)
	v_and_b32_e32 v22, 0xf0, v17
	v_and_b32_e32 v23, 0x170, v18
	s_delay_alu instid0(VALU_DEP_4)
	v_and_b32_e32 v24, 0x1f0, v19
	v_lshlrev_b32_e32 v17, 2, v0
	v_add_nc_u32_e32 v0, v21, v20
	s_waitcnt lgkmcnt(0)
	s_add_u32 s4, s4, s2
	s_addc_u32 s5, s5, s3
	v_add_co_u32 v3, s6, s4, v20
	s_delay_alu instid0(VALU_DEP_1) | instskip(SKIP_1) | instid1(VALU_DEP_3)
	v_add_co_ci_u32_e64 v4, null, s5, 0, s6
	v_add_nc_u32_e32 v18, v22, v20
	v_add_co_u32 v1, vcc_lo, v3, 0x2000
	s_delay_alu instid0(VALU_DEP_3)
	v_add_co_ci_u32_e32 v2, vcc_lo, 0, v4, vcc_lo
	v_add_co_u32 v3, vcc_lo, 0x3000, v3
	v_add_co_ci_u32_e32 v4, vcc_lo, 0, v4, vcc_lo
	s_clause 0x3
	global_load_b128 v[9:12], v[1:2], off offset:-4096
	global_load_b128 v[5:8], v[1:2], off
	global_load_b128 v[13:16], v20, s[4:5]
	global_load_b128 v[1:4], v[3:4], off
	v_add_nc_u32_e32 v19, v23, v20
	v_add_nc_u32_e32 v20, v24, v20
	v_add_lshl_u32 v21, v25, v17, 4
	s_movk_i32 s4, 0x64
	.p2align	6
.LBB57_1:                               ; =>This Inner Loop Header: Depth=1
	s_waitcnt vmcnt(1)
	ds_store_b128 v0, v[13:16]
	ds_store_b128 v18, v[9:12] offset:4096
	ds_store_b128 v19, v[5:8] offset:8192
	s_waitcnt vmcnt(0)
	ds_store_b128 v20, v[1:4] offset:12288
	s_waitcnt lgkmcnt(0)
	s_barrier
	buffer_gl0_inv
	ds_load_b128 v[13:16], v21
	ds_load_b128 v[9:12], v21 offset:16
	ds_load_b128 v[5:8], v21 offset:32
	;; [unrolled: 1-line block ×3, first 2 shown]
	s_add_i32 s4, s4, -1
	s_waitcnt lgkmcnt(0)
	s_cmp_lg_u32 s4, 0
	s_barrier
	buffer_gl0_inv
	s_cbranch_scc1 .LBB57_1
; %bb.2:
	s_load_b64 s[0:1], s[0:1], 0x10
	v_lshlrev_b32_e32 v0, 4, v17
	s_waitcnt lgkmcnt(0)
	s_add_u32 s0, s0, s2
	s_addc_u32 s1, s1, s3
	s_clause 0x3
	global_store_b128 v0, v[13:16], s[0:1]
	global_store_b128 v0, v[9:12], s[0:1] offset:16
	global_store_b128 v0, v[5:8], s[0:1] offset:32
	;; [unrolled: 1-line block ×3, first 2 shown]
	s_nop 0
	s_sendmsg sendmsg(MSG_DEALLOC_VGPRS)
	s_endpgm
	.section	.rodata,"a",@progbits
	.p2align	6, 0x0
	.amdhsa_kernel _Z6kernelI18striped_to_blockedN15benchmark_utils11custom_typeIddEELj256ELj4ELj100EEvPKT0_PKjPS4_
		.amdhsa_group_segment_fixed_size 16896
		.amdhsa_private_segment_fixed_size 0
		.amdhsa_kernarg_size 24
		.amdhsa_user_sgpr_count 15
		.amdhsa_user_sgpr_dispatch_ptr 0
		.amdhsa_user_sgpr_queue_ptr 0
		.amdhsa_user_sgpr_kernarg_segment_ptr 1
		.amdhsa_user_sgpr_dispatch_id 0
		.amdhsa_user_sgpr_private_segment_size 0
		.amdhsa_wavefront_size32 1
		.amdhsa_uses_dynamic_stack 0
		.amdhsa_enable_private_segment 0
		.amdhsa_system_sgpr_workgroup_id_x 1
		.amdhsa_system_sgpr_workgroup_id_y 0
		.amdhsa_system_sgpr_workgroup_id_z 0
		.amdhsa_system_sgpr_workgroup_info 0
		.amdhsa_system_vgpr_workitem_id 0
		.amdhsa_next_free_vgpr 26
		.amdhsa_next_free_sgpr 16
		.amdhsa_reserve_vcc 1
		.amdhsa_float_round_mode_32 0
		.amdhsa_float_round_mode_16_64 0
		.amdhsa_float_denorm_mode_32 3
		.amdhsa_float_denorm_mode_16_64 3
		.amdhsa_dx10_clamp 1
		.amdhsa_ieee_mode 1
		.amdhsa_fp16_overflow 0
		.amdhsa_workgroup_processor_mode 1
		.amdhsa_memory_ordered 1
		.amdhsa_forward_progress 0
		.amdhsa_shared_vgpr_count 0
		.amdhsa_exception_fp_ieee_invalid_op 0
		.amdhsa_exception_fp_denorm_src 0
		.amdhsa_exception_fp_ieee_div_zero 0
		.amdhsa_exception_fp_ieee_overflow 0
		.amdhsa_exception_fp_ieee_underflow 0
		.amdhsa_exception_fp_ieee_inexact 0
		.amdhsa_exception_int_div_zero 0
	.end_amdhsa_kernel
	.section	.text._Z6kernelI18striped_to_blockedN15benchmark_utils11custom_typeIddEELj256ELj4ELj100EEvPKT0_PKjPS4_,"axG",@progbits,_Z6kernelI18striped_to_blockedN15benchmark_utils11custom_typeIddEELj256ELj4ELj100EEvPKT0_PKjPS4_,comdat
.Lfunc_end57:
	.size	_Z6kernelI18striped_to_blockedN15benchmark_utils11custom_typeIddEELj256ELj4ELj100EEvPKT0_PKjPS4_, .Lfunc_end57-_Z6kernelI18striped_to_blockedN15benchmark_utils11custom_typeIddEELj256ELj4ELj100EEvPKT0_PKjPS4_
                                        ; -- End function
	.section	.AMDGPU.csdata,"",@progbits
; Kernel info:
; codeLenInByte = 432
; NumSgprs: 18
; NumVgprs: 26
; ScratchSize: 0
; MemoryBound: 0
; FloatMode: 240
; IeeeMode: 1
; LDSByteSize: 16896 bytes/workgroup (compile time only)
; SGPRBlocks: 2
; VGPRBlocks: 3
; NumSGPRsForWavesPerEU: 18
; NumVGPRsForWavesPerEU: 26
; Occupancy: 14
; WaveLimiterHint : 1
; COMPUTE_PGM_RSRC2:SCRATCH_EN: 0
; COMPUTE_PGM_RSRC2:USER_SGPR: 15
; COMPUTE_PGM_RSRC2:TRAP_HANDLER: 0
; COMPUTE_PGM_RSRC2:TGID_X_EN: 1
; COMPUTE_PGM_RSRC2:TGID_Y_EN: 0
; COMPUTE_PGM_RSRC2:TGID_Z_EN: 0
; COMPUTE_PGM_RSRC2:TIDIG_COMP_CNT: 0
	.section	.text._Z6kernelI18striped_to_blockedN15benchmark_utils11custom_typeIddEELj256ELj7ELj100EEvPKT0_PKjPS4_,"axG",@progbits,_Z6kernelI18striped_to_blockedN15benchmark_utils11custom_typeIddEELj256ELj7ELj100EEvPKT0_PKjPS4_,comdat
	.protected	_Z6kernelI18striped_to_blockedN15benchmark_utils11custom_typeIddEELj256ELj7ELj100EEvPKT0_PKjPS4_ ; -- Begin function _Z6kernelI18striped_to_blockedN15benchmark_utils11custom_typeIddEELj256ELj7ELj100EEvPKT0_PKjPS4_
	.globl	_Z6kernelI18striped_to_blockedN15benchmark_utils11custom_typeIddEELj256ELj7ELj100EEvPKT0_PKjPS4_
	.p2align	8
	.type	_Z6kernelI18striped_to_blockedN15benchmark_utils11custom_typeIddEELj256ELj7ELj100EEvPKT0_PKjPS4_,@function
_Z6kernelI18striped_to_blockedN15benchmark_utils11custom_typeIddEELj256ELj7ELj100EEvPKT0_PKjPS4_: ; @_Z6kernelI18striped_to_blockedN15benchmark_utils11custom_typeIddEELj256ELj7ELj100EEvPKT0_PKjPS4_
; %bb.0:
	s_load_b64 s[4:5], s[0:1], 0x0
	s_mov_b32 s3, 0
	s_mul_i32 s2, s15, 0x700
	v_lshlrev_b32_e32 v29, 4, v0
	s_lshl_b64 s[2:3], s[2:3], 4
	v_mul_u32_u24_e32 v30, 0x60, v0
	s_delay_alu instid0(VALU_DEP_1) | instskip(SKIP_4) | instid1(VALU_DEP_1)
	v_add_nc_u32_e32 v30, v29, v30
	s_waitcnt lgkmcnt(0)
	s_add_u32 s4, s4, s2
	s_addc_u32 s5, s5, s3
	v_add_co_u32 v3, s6, s4, v29
	v_add_co_ci_u32_e64 v4, null, s5, 0, s6
	s_delay_alu instid0(VALU_DEP_2) | instskip(NEXT) | instid1(VALU_DEP_2)
	v_add_co_u32 v1, vcc_lo, v3, 0x2000
	v_add_co_ci_u32_e32 v2, vcc_lo, 0, v4, vcc_lo
	v_add_co_u32 v13, vcc_lo, v3, 0x4000
	v_add_co_ci_u32_e32 v14, vcc_lo, 0, v4, vcc_lo
	;; [unrolled: 2-line block ×3, first 2 shown]
	s_clause 0x6
	global_load_b128 v[25:28], v29, s[4:5]
	global_load_b128 v[9:12], v[1:2], off offset:-4096
	global_load_b128 v[5:8], v[1:2], off
	global_load_b128 v[1:4], v[13:14], off offset:-4096
	global_load_b128 v[17:20], v[13:14], off
	;; [unrolled: 2-line block ×3, first 2 shown]
	s_movk_i32 s4, 0x64
	s_set_inst_prefetch_distance 0x1
	.p2align	6
.LBB58_1:                               ; =>This Inner Loop Header: Depth=1
	s_waitcnt vmcnt(6)
	ds_store_b128 v29, v[25:28]
	s_waitcnt vmcnt(5)
	ds_store_b128 v29, v[9:12] offset:4096
	s_waitcnt vmcnt(4)
	ds_store_b128 v29, v[5:8] offset:8192
	;; [unrolled: 2-line block ×6, first 2 shown]
	s_waitcnt lgkmcnt(0)
	s_barrier
	buffer_gl0_inv
	ds_load_b128 v[25:28], v30
	ds_load_b128 v[9:12], v30 offset:16
	ds_load_b128 v[5:8], v30 offset:32
	;; [unrolled: 1-line block ×6, first 2 shown]
	s_add_i32 s4, s4, -1
	s_waitcnt lgkmcnt(0)
	s_cmp_lg_u32 s4, 0
	s_barrier
	buffer_gl0_inv
	s_cbranch_scc1 .LBB58_1
; %bb.2:
	s_set_inst_prefetch_distance 0x2
	s_load_b64 s[0:1], s[0:1], 0x10
	v_mul_u32_u24_e32 v0, 7, v0
	s_delay_alu instid0(VALU_DEP_1)
	v_lshlrev_b32_e32 v0, 4, v0
	s_waitcnt lgkmcnt(0)
	s_add_u32 s0, s0, s2
	s_addc_u32 s1, s1, s3
	s_clause 0x6
	global_store_b128 v0, v[25:28], s[0:1]
	global_store_b128 v0, v[9:12], s[0:1] offset:16
	global_store_b128 v0, v[5:8], s[0:1] offset:32
	;; [unrolled: 1-line block ×6, first 2 shown]
	s_nop 0
	s_sendmsg sendmsg(MSG_DEALLOC_VGPRS)
	s_endpgm
	.section	.rodata,"a",@progbits
	.p2align	6, 0x0
	.amdhsa_kernel _Z6kernelI18striped_to_blockedN15benchmark_utils11custom_typeIddEELj256ELj7ELj100EEvPKT0_PKjPS4_
		.amdhsa_group_segment_fixed_size 28672
		.amdhsa_private_segment_fixed_size 0
		.amdhsa_kernarg_size 24
		.amdhsa_user_sgpr_count 15
		.amdhsa_user_sgpr_dispatch_ptr 0
		.amdhsa_user_sgpr_queue_ptr 0
		.amdhsa_user_sgpr_kernarg_segment_ptr 1
		.amdhsa_user_sgpr_dispatch_id 0
		.amdhsa_user_sgpr_private_segment_size 0
		.amdhsa_wavefront_size32 1
		.amdhsa_uses_dynamic_stack 0
		.amdhsa_enable_private_segment 0
		.amdhsa_system_sgpr_workgroup_id_x 1
		.amdhsa_system_sgpr_workgroup_id_y 0
		.amdhsa_system_sgpr_workgroup_id_z 0
		.amdhsa_system_sgpr_workgroup_info 0
		.amdhsa_system_vgpr_workitem_id 0
		.amdhsa_next_free_vgpr 31
		.amdhsa_next_free_sgpr 16
		.amdhsa_reserve_vcc 1
		.amdhsa_float_round_mode_32 0
		.amdhsa_float_round_mode_16_64 0
		.amdhsa_float_denorm_mode_32 3
		.amdhsa_float_denorm_mode_16_64 3
		.amdhsa_dx10_clamp 1
		.amdhsa_ieee_mode 1
		.amdhsa_fp16_overflow 0
		.amdhsa_workgroup_processor_mode 1
		.amdhsa_memory_ordered 1
		.amdhsa_forward_progress 0
		.amdhsa_shared_vgpr_count 0
		.amdhsa_exception_fp_ieee_invalid_op 0
		.amdhsa_exception_fp_denorm_src 0
		.amdhsa_exception_fp_ieee_div_zero 0
		.amdhsa_exception_fp_ieee_overflow 0
		.amdhsa_exception_fp_ieee_underflow 0
		.amdhsa_exception_fp_ieee_inexact 0
		.amdhsa_exception_int_div_zero 0
	.end_amdhsa_kernel
	.section	.text._Z6kernelI18striped_to_blockedN15benchmark_utils11custom_typeIddEELj256ELj7ELj100EEvPKT0_PKjPS4_,"axG",@progbits,_Z6kernelI18striped_to_blockedN15benchmark_utils11custom_typeIddEELj256ELj7ELj100EEvPKT0_PKjPS4_,comdat
.Lfunc_end58:
	.size	_Z6kernelI18striped_to_blockedN15benchmark_utils11custom_typeIddEELj256ELj7ELj100EEvPKT0_PKjPS4_, .Lfunc_end58-_Z6kernelI18striped_to_blockedN15benchmark_utils11custom_typeIddEELj256ELj7ELj100EEvPKT0_PKjPS4_
                                        ; -- End function
	.section	.AMDGPU.csdata,"",@progbits
; Kernel info:
; codeLenInByte = 484
; NumSgprs: 18
; NumVgprs: 31
; ScratchSize: 0
; MemoryBound: 1
; FloatMode: 240
; IeeeMode: 1
; LDSByteSize: 28672 bytes/workgroup (compile time only)
; SGPRBlocks: 2
; VGPRBlocks: 3
; NumSGPRsForWavesPerEU: 18
; NumVGPRsForWavesPerEU: 31
; Occupancy: 8
; WaveLimiterHint : 1
; COMPUTE_PGM_RSRC2:SCRATCH_EN: 0
; COMPUTE_PGM_RSRC2:USER_SGPR: 15
; COMPUTE_PGM_RSRC2:TRAP_HANDLER: 0
; COMPUTE_PGM_RSRC2:TGID_X_EN: 1
; COMPUTE_PGM_RSRC2:TGID_Y_EN: 0
; COMPUTE_PGM_RSRC2:TGID_Z_EN: 0
; COMPUTE_PGM_RSRC2:TIDIG_COMP_CNT: 0
	.section	.text._Z6kernelI18striped_to_blockedN15benchmark_utils11custom_typeIddEELj256ELj8ELj100EEvPKT0_PKjPS4_,"axG",@progbits,_Z6kernelI18striped_to_blockedN15benchmark_utils11custom_typeIddEELj256ELj8ELj100EEvPKT0_PKjPS4_,comdat
	.protected	_Z6kernelI18striped_to_blockedN15benchmark_utils11custom_typeIddEELj256ELj8ELj100EEvPKT0_PKjPS4_ ; -- Begin function _Z6kernelI18striped_to_blockedN15benchmark_utils11custom_typeIddEELj256ELj8ELj100EEvPKT0_PKjPS4_
	.globl	_Z6kernelI18striped_to_blockedN15benchmark_utils11custom_typeIddEELj256ELj8ELj100EEvPKT0_PKjPS4_
	.p2align	8
	.type	_Z6kernelI18striped_to_blockedN15benchmark_utils11custom_typeIddEELj256ELj8ELj100EEvPKT0_PKjPS4_,@function
_Z6kernelI18striped_to_blockedN15benchmark_utils11custom_typeIddEELj256ELj8ELj100EEvPKT0_PKjPS4_: ; @_Z6kernelI18striped_to_blockedN15benchmark_utils11custom_typeIddEELj256ELj8ELj100EEvPKT0_PKjPS4_
; %bb.0:
	s_load_b64 s[4:5], s[0:1], 0x0
	s_mov_b32 s3, 0
	s_lshl_b32 s2, s15, 11
	v_lshlrev_b32_e32 v40, 4, v0
	s_lshl_b64 s[2:3], s[2:3], 4
	v_or_b32_e32 v33, 0x100, v0
	v_or_b32_e32 v34, 0x200, v0
	v_lshrrev_b32_e32 v35, 1, v0
	v_or_b32_e32 v38, 0x300, v0
	v_or_b32_e32 v39, 0x600, v0
	v_lshrrev_b32_e32 v33, 1, v33
	v_lshrrev_b32_e32 v34, 1, v34
	v_and_b32_e32 v35, 0x70, v35
	v_or_b32_e32 v41, 0x700, v0
	v_lshrrev_b32_e32 v39, 1, v39
	v_and_b32_e32 v36, 0xf0, v33
	v_and_b32_e32 v37, 0x170, v34
	v_add_nc_u32_e32 v33, v35, v40
	v_lshrrev_b32_e32 v41, 1, v41
	v_and_b32_e32 v39, 0x370, v39
	s_waitcnt lgkmcnt(0)
	s_add_u32 s4, s4, s2
	s_addc_u32 s5, s5, s3
	v_add_co_u32 v3, s6, s4, v40
	s_delay_alu instid0(VALU_DEP_1) | instskip(SKIP_1) | instid1(VALU_DEP_3)
	v_add_co_ci_u32_e64 v4, null, s5, 0, s6
	v_add_nc_u32_e32 v34, v36, v40
	v_add_co_u32 v1, vcc_lo, v3, 0x2000
	s_delay_alu instid0(VALU_DEP_3)
	v_add_co_ci_u32_e32 v2, vcc_lo, 0, v4, vcc_lo
	v_add_co_u32 v9, vcc_lo, v3, 0x4000
	v_add_co_ci_u32_e32 v10, vcc_lo, 0, v4, vcc_lo
	v_add_co_u32 v11, vcc_lo, v3, 0x6000
	;; [unrolled: 2-line block ×3, first 2 shown]
	v_add_co_ci_u32_e32 v18, vcc_lo, 0, v4, vcc_lo
	s_clause 0x7
	global_load_b128 v[13:16], v[1:2], off offset:-4096
	global_load_b128 v[5:8], v[1:2], off
	global_load_b128 v[1:4], v[9:10], off offset:-4096
	global_load_b128 v[25:28], v[9:10], off
	;; [unrolled: 2-line block ×3, first 2 shown]
	global_load_b128 v[29:32], v40, s[4:5]
	global_load_b128 v[17:20], v[17:18], off
	v_add_nc_u32_e32 v35, v37, v40
	v_lshrrev_b32_e32 v36, 1, v38
	v_or_b32_e32 v37, 0x400, v0
	v_or_b32_e32 v38, 0x500, v0
	v_and_b32_e32 v41, 0x3f0, v41
	v_lshrrev_b32_e32 v43, 2, v0
	v_and_b32_e32 v36, 0x1f0, v36
	v_lshrrev_b32_e32 v42, 1, v37
	v_lshrrev_b32_e32 v38, 1, v38
	v_add_nc_u32_e32 v39, v39, v40
	s_movk_i32 s4, 0x64
	v_add_nc_u32_e32 v37, v36, v40
	v_and_b32_e32 v42, 0x270, v42
	v_and_b32_e32 v38, 0x2f0, v38
	v_lshlrev_b32_e32 v36, 3, v0
	s_delay_alu instid0(VALU_DEP_3) | instskip(NEXT) | instid1(VALU_DEP_3)
	v_add_nc_u32_e32 v0, v42, v40
	v_add_nc_u32_e32 v38, v38, v40
	v_add_nc_u32_e32 v40, v41, v40
	s_delay_alu instid0(VALU_DEP_4)
	v_add_lshl_u32 v41, v43, v36, 4
	s_set_inst_prefetch_distance 0x1
	.p2align	6
.LBB59_1:                               ; =>This Inner Loop Header: Depth=1
	s_waitcnt vmcnt(1)
	ds_store_b128 v33, v[29:32]
	ds_store_b128 v34, v[13:16] offset:4096
	ds_store_b128 v35, v[5:8] offset:8192
	;; [unrolled: 1-line block ×6, first 2 shown]
	s_waitcnt vmcnt(0)
	ds_store_b128 v40, v[17:20] offset:28672
	s_waitcnt lgkmcnt(0)
	s_barrier
	buffer_gl0_inv
	ds_load_b128 v[29:32], v41
	ds_load_b128 v[13:16], v41 offset:16
	ds_load_b128 v[5:8], v41 offset:32
	;; [unrolled: 1-line block ×7, first 2 shown]
	s_add_i32 s4, s4, -1
	s_waitcnt lgkmcnt(0)
	s_cmp_lg_u32 s4, 0
	s_barrier
	buffer_gl0_inv
	s_cbranch_scc1 .LBB59_1
; %bb.2:
	s_set_inst_prefetch_distance 0x2
	s_load_b64 s[0:1], s[0:1], 0x10
	v_lshlrev_b32_e32 v0, 4, v36
	s_waitcnt lgkmcnt(0)
	s_add_u32 s0, s0, s2
	s_addc_u32 s1, s1, s3
	s_clause 0x7
	global_store_b128 v0, v[29:32], s[0:1]
	global_store_b128 v0, v[13:16], s[0:1] offset:16
	global_store_b128 v0, v[5:8], s[0:1] offset:32
	;; [unrolled: 1-line block ×7, first 2 shown]
	s_nop 0
	s_sendmsg sendmsg(MSG_DEALLOC_VGPRS)
	s_endpgm
	.section	.rodata,"a",@progbits
	.p2align	6, 0x0
	.amdhsa_kernel _Z6kernelI18striped_to_blockedN15benchmark_utils11custom_typeIddEELj256ELj8ELj100EEvPKT0_PKjPS4_
		.amdhsa_group_segment_fixed_size 33792
		.amdhsa_private_segment_fixed_size 0
		.amdhsa_kernarg_size 24
		.amdhsa_user_sgpr_count 15
		.amdhsa_user_sgpr_dispatch_ptr 0
		.amdhsa_user_sgpr_queue_ptr 0
		.amdhsa_user_sgpr_kernarg_segment_ptr 1
		.amdhsa_user_sgpr_dispatch_id 0
		.amdhsa_user_sgpr_private_segment_size 0
		.amdhsa_wavefront_size32 1
		.amdhsa_uses_dynamic_stack 0
		.amdhsa_enable_private_segment 0
		.amdhsa_system_sgpr_workgroup_id_x 1
		.amdhsa_system_sgpr_workgroup_id_y 0
		.amdhsa_system_sgpr_workgroup_id_z 0
		.amdhsa_system_sgpr_workgroup_info 0
		.amdhsa_system_vgpr_workitem_id 0
		.amdhsa_next_free_vgpr 44
		.amdhsa_next_free_sgpr 16
		.amdhsa_reserve_vcc 1
		.amdhsa_float_round_mode_32 0
		.amdhsa_float_round_mode_16_64 0
		.amdhsa_float_denorm_mode_32 3
		.amdhsa_float_denorm_mode_16_64 3
		.amdhsa_dx10_clamp 1
		.amdhsa_ieee_mode 1
		.amdhsa_fp16_overflow 0
		.amdhsa_workgroup_processor_mode 1
		.amdhsa_memory_ordered 1
		.amdhsa_forward_progress 0
		.amdhsa_shared_vgpr_count 0
		.amdhsa_exception_fp_ieee_invalid_op 0
		.amdhsa_exception_fp_denorm_src 0
		.amdhsa_exception_fp_ieee_div_zero 0
		.amdhsa_exception_fp_ieee_overflow 0
		.amdhsa_exception_fp_ieee_underflow 0
		.amdhsa_exception_fp_ieee_inexact 0
		.amdhsa_exception_int_div_zero 0
	.end_amdhsa_kernel
	.section	.text._Z6kernelI18striped_to_blockedN15benchmark_utils11custom_typeIddEELj256ELj8ELj100EEvPKT0_PKjPS4_,"axG",@progbits,_Z6kernelI18striped_to_blockedN15benchmark_utils11custom_typeIddEELj256ELj8ELj100EEvPKT0_PKjPS4_,comdat
.Lfunc_end59:
	.size	_Z6kernelI18striped_to_blockedN15benchmark_utils11custom_typeIddEELj256ELj8ELj100EEvPKT0_PKjPS4_, .Lfunc_end59-_Z6kernelI18striped_to_blockedN15benchmark_utils11custom_typeIddEELj256ELj8ELj100EEvPKT0_PKjPS4_
                                        ; -- End function
	.section	.AMDGPU.csdata,"",@progbits
; Kernel info:
; codeLenInByte = 696
; NumSgprs: 18
; NumVgprs: 44
; ScratchSize: 0
; MemoryBound: 0
; FloatMode: 240
; IeeeMode: 1
; LDSByteSize: 33792 bytes/workgroup (compile time only)
; SGPRBlocks: 2
; VGPRBlocks: 5
; NumSGPRsForWavesPerEU: 18
; NumVGPRsForWavesPerEU: 44
; Occupancy: 6
; WaveLimiterHint : 1
; COMPUTE_PGM_RSRC2:SCRATCH_EN: 0
; COMPUTE_PGM_RSRC2:USER_SGPR: 15
; COMPUTE_PGM_RSRC2:TRAP_HANDLER: 0
; COMPUTE_PGM_RSRC2:TGID_X_EN: 1
; COMPUTE_PGM_RSRC2:TGID_Y_EN: 0
; COMPUTE_PGM_RSRC2:TGID_Z_EN: 0
; COMPUTE_PGM_RSRC2:TIDIG_COMP_CNT: 0
	.section	.text._Z6kernelI23blocked_to_warp_stripediLj256ELj1ELj100EEvPKT0_PKjPS1_,"axG",@progbits,_Z6kernelI23blocked_to_warp_stripediLj256ELj1ELj100EEvPKT0_PKjPS1_,comdat
	.protected	_Z6kernelI23blocked_to_warp_stripediLj256ELj1ELj100EEvPKT0_PKjPS1_ ; -- Begin function _Z6kernelI23blocked_to_warp_stripediLj256ELj1ELj100EEvPKT0_PKjPS1_
	.globl	_Z6kernelI23blocked_to_warp_stripediLj256ELj1ELj100EEvPKT0_PKjPS1_
	.p2align	8
	.type	_Z6kernelI23blocked_to_warp_stripediLj256ELj1ELj100EEvPKT0_PKjPS1_,@function
_Z6kernelI23blocked_to_warp_stripediLj256ELj1ELj100EEvPKT0_PKjPS1_: ; @_Z6kernelI23blocked_to_warp_stripediLj256ELj1ELj100EEvPKT0_PKjPS1_
; %bb.0:
	s_load_b64 s[4:5], s[0:1], 0x0
	s_lshl_b32 s2, s15, 8
	s_mov_b32 s3, 0
	v_lshlrev_b32_e32 v1, 2, v0
	s_lshl_b64 s[2:3], s[2:3], 2
	v_mbcnt_lo_u32_b32 v2, -1, 0
	v_and_b32_e32 v0, 0xe0, v0
	s_delay_alu instid0(VALU_DEP_1) | instskip(NEXT) | instid1(VALU_DEP_1)
	v_or_b32_e32 v3, v2, v0
	v_lshlrev_b32_e32 v3, 2, v3
	s_waitcnt lgkmcnt(0)
	s_add_u32 s4, s4, s2
	s_addc_u32 s5, s5, s3
	global_load_b32 v1, v1, s[4:5]
	s_movk_i32 s4, 0x64
.LBB60_1:                               ; =>This Inner Loop Header: Depth=1
	s_waitcnt vmcnt(0)
	ds_store_b32 v3, v1
	; wave barrier
	ds_load_b32 v1, v3
	s_add_i32 s4, s4, -1
	s_waitcnt lgkmcnt(0)
	s_cmp_lg_u32 s4, 0
	s_barrier
	buffer_gl0_inv
	s_cbranch_scc1 .LBB60_1
; %bb.2:
	s_load_b64 s[0:1], s[0:1], 0x10
	v_lshlrev_b32_e32 v2, 2, v2
	v_lshlrev_b32_e32 v0, 2, v0
	s_waitcnt lgkmcnt(0)
	s_add_u32 s0, s0, s2
	s_addc_u32 s1, s1, s3
	v_add_co_u32 v2, s0, s0, v2
	s_delay_alu instid0(VALU_DEP_1) | instskip(NEXT) | instid1(VALU_DEP_2)
	v_add_co_ci_u32_e64 v3, null, s1, 0, s0
	v_add_co_u32 v2, vcc_lo, v2, v0
	s_delay_alu instid0(VALU_DEP_2)
	v_add_co_ci_u32_e32 v3, vcc_lo, 0, v3, vcc_lo
	global_store_b32 v[2:3], v1, off
	s_nop 0
	s_sendmsg sendmsg(MSG_DEALLOC_VGPRS)
	s_endpgm
	.section	.rodata,"a",@progbits
	.p2align	6, 0x0
	.amdhsa_kernel _Z6kernelI23blocked_to_warp_stripediLj256ELj1ELj100EEvPKT0_PKjPS1_
		.amdhsa_group_segment_fixed_size 1024
		.amdhsa_private_segment_fixed_size 0
		.amdhsa_kernarg_size 24
		.amdhsa_user_sgpr_count 15
		.amdhsa_user_sgpr_dispatch_ptr 0
		.amdhsa_user_sgpr_queue_ptr 0
		.amdhsa_user_sgpr_kernarg_segment_ptr 1
		.amdhsa_user_sgpr_dispatch_id 0
		.amdhsa_user_sgpr_private_segment_size 0
		.amdhsa_wavefront_size32 1
		.amdhsa_uses_dynamic_stack 0
		.amdhsa_enable_private_segment 0
		.amdhsa_system_sgpr_workgroup_id_x 1
		.amdhsa_system_sgpr_workgroup_id_y 0
		.amdhsa_system_sgpr_workgroup_id_z 0
		.amdhsa_system_sgpr_workgroup_info 0
		.amdhsa_system_vgpr_workitem_id 0
		.amdhsa_next_free_vgpr 4
		.amdhsa_next_free_sgpr 16
		.amdhsa_reserve_vcc 1
		.amdhsa_float_round_mode_32 0
		.amdhsa_float_round_mode_16_64 0
		.amdhsa_float_denorm_mode_32 3
		.amdhsa_float_denorm_mode_16_64 3
		.amdhsa_dx10_clamp 1
		.amdhsa_ieee_mode 1
		.amdhsa_fp16_overflow 0
		.amdhsa_workgroup_processor_mode 1
		.amdhsa_memory_ordered 1
		.amdhsa_forward_progress 0
		.amdhsa_shared_vgpr_count 0
		.amdhsa_exception_fp_ieee_invalid_op 0
		.amdhsa_exception_fp_denorm_src 0
		.amdhsa_exception_fp_ieee_div_zero 0
		.amdhsa_exception_fp_ieee_overflow 0
		.amdhsa_exception_fp_ieee_underflow 0
		.amdhsa_exception_fp_ieee_inexact 0
		.amdhsa_exception_int_div_zero 0
	.end_amdhsa_kernel
	.section	.text._Z6kernelI23blocked_to_warp_stripediLj256ELj1ELj100EEvPKT0_PKjPS1_,"axG",@progbits,_Z6kernelI23blocked_to_warp_stripediLj256ELj1ELj100EEvPKT0_PKjPS1_,comdat
.Lfunc_end60:
	.size	_Z6kernelI23blocked_to_warp_stripediLj256ELj1ELj100EEvPKT0_PKjPS1_, .Lfunc_end60-_Z6kernelI23blocked_to_warp_stripediLj256ELj1ELj100EEvPKT0_PKjPS1_
                                        ; -- End function
	.section	.AMDGPU.csdata,"",@progbits
; Kernel info:
; codeLenInByte = 208
; NumSgprs: 18
; NumVgprs: 4
; ScratchSize: 0
; MemoryBound: 0
; FloatMode: 240
; IeeeMode: 1
; LDSByteSize: 1024 bytes/workgroup (compile time only)
; SGPRBlocks: 2
; VGPRBlocks: 0
; NumSGPRsForWavesPerEU: 18
; NumVGPRsForWavesPerEU: 4
; Occupancy: 16
; WaveLimiterHint : 0
; COMPUTE_PGM_RSRC2:SCRATCH_EN: 0
; COMPUTE_PGM_RSRC2:USER_SGPR: 15
; COMPUTE_PGM_RSRC2:TRAP_HANDLER: 0
; COMPUTE_PGM_RSRC2:TGID_X_EN: 1
; COMPUTE_PGM_RSRC2:TGID_Y_EN: 0
; COMPUTE_PGM_RSRC2:TGID_Z_EN: 0
; COMPUTE_PGM_RSRC2:TIDIG_COMP_CNT: 0
	.section	.text._Z6kernelI23blocked_to_warp_stripediLj256ELj2ELj100EEvPKT0_PKjPS1_,"axG",@progbits,_Z6kernelI23blocked_to_warp_stripediLj256ELj2ELj100EEvPKT0_PKjPS1_,comdat
	.protected	_Z6kernelI23blocked_to_warp_stripediLj256ELj2ELj100EEvPKT0_PKjPS1_ ; -- Begin function _Z6kernelI23blocked_to_warp_stripediLj256ELj2ELj100EEvPKT0_PKjPS1_
	.globl	_Z6kernelI23blocked_to_warp_stripediLj256ELj2ELj100EEvPKT0_PKjPS1_
	.p2align	8
	.type	_Z6kernelI23blocked_to_warp_stripediLj256ELj2ELj100EEvPKT0_PKjPS1_,@function
_Z6kernelI23blocked_to_warp_stripediLj256ELj2ELj100EEvPKT0_PKjPS1_: ; @_Z6kernelI23blocked_to_warp_stripediLj256ELj2ELj100EEvPKT0_PKjPS1_
; %bb.0:
	s_load_b64 s[4:5], s[0:1], 0x0
	s_lshl_b32 s2, s15, 9
	s_mov_b32 s3, 0
	v_lshlrev_b32_e32 v1, 3, v0
	s_lshl_b64 s[2:3], s[2:3], 2
	v_mbcnt_lo_u32_b32 v3, -1, 0
	v_lshlrev_b32_e32 v4, 1, v0
	s_delay_alu instid0(VALU_DEP_2) | instskip(NEXT) | instid1(VALU_DEP_2)
	v_and_or_b32 v5, 0xe0, v0, v3
	v_and_b32_e32 v0, 0x1c0, v4
	s_delay_alu instid0(VALU_DEP_2) | instskip(NEXT) | instid1(VALU_DEP_2)
	v_lshrrev_b32_e32 v4, 2, v5
	v_or_b32_e32 v6, 32, v0
	v_or_b32_e32 v7, v3, v0
	v_lshrrev_b32_e32 v8, 5, v0
	s_delay_alu instid0(VALU_DEP_4)
	v_and_b32_e32 v4, 60, v4
	s_waitcnt lgkmcnt(0)
	s_add_u32 s4, s4, s2
	s_addc_u32 s5, s5, s3
	v_lshrrev_b32_e32 v6, 5, v6
	global_load_b64 v[1:2], v1, s[4:5]
	v_lshl_add_u32 v4, v5, 3, v4
	v_add_lshl_u32 v5, v8, v7, 2
	s_movk_i32 s4, 0x64
	v_add_lshl_u32 v6, v6, v7, 2
.LBB61_1:                               ; =>This Inner Loop Header: Depth=1
	s_waitcnt vmcnt(0)
	ds_store_2addr_b32 v4, v1, v2 offset1:1
	; wave barrier
	ds_load_b32 v1, v5
	ds_load_b32 v2, v6 offset:128
	s_add_i32 s4, s4, -1
	s_waitcnt lgkmcnt(0)
	s_cmp_lg_u32 s4, 0
	s_barrier
	buffer_gl0_inv
	s_cbranch_scc1 .LBB61_1
; %bb.2:
	s_load_b64 s[0:1], s[0:1], 0x10
	v_lshlrev_b32_e32 v3, 2, v3
	v_lshlrev_b32_e32 v0, 2, v0
	s_waitcnt lgkmcnt(0)
	s_add_u32 s0, s0, s2
	s_addc_u32 s1, s1, s3
	v_add_co_u32 v3, s0, s0, v3
	s_delay_alu instid0(VALU_DEP_1) | instskip(NEXT) | instid1(VALU_DEP_2)
	v_add_co_ci_u32_e64 v4, null, s1, 0, s0
	v_add_co_u32 v3, vcc_lo, v3, v0
	s_delay_alu instid0(VALU_DEP_2)
	v_add_co_ci_u32_e32 v4, vcc_lo, 0, v4, vcc_lo
	s_clause 0x1
	global_store_b32 v[3:4], v1, off
	global_store_b32 v[3:4], v2, off offset:128
	s_nop 0
	s_sendmsg sendmsg(MSG_DEALLOC_VGPRS)
	s_endpgm
	.section	.rodata,"a",@progbits
	.p2align	6, 0x0
	.amdhsa_kernel _Z6kernelI23blocked_to_warp_stripediLj256ELj2ELj100EEvPKT0_PKjPS1_
		.amdhsa_group_segment_fixed_size 2112
		.amdhsa_private_segment_fixed_size 0
		.amdhsa_kernarg_size 24
		.amdhsa_user_sgpr_count 15
		.amdhsa_user_sgpr_dispatch_ptr 0
		.amdhsa_user_sgpr_queue_ptr 0
		.amdhsa_user_sgpr_kernarg_segment_ptr 1
		.amdhsa_user_sgpr_dispatch_id 0
		.amdhsa_user_sgpr_private_segment_size 0
		.amdhsa_wavefront_size32 1
		.amdhsa_uses_dynamic_stack 0
		.amdhsa_enable_private_segment 0
		.amdhsa_system_sgpr_workgroup_id_x 1
		.amdhsa_system_sgpr_workgroup_id_y 0
		.amdhsa_system_sgpr_workgroup_id_z 0
		.amdhsa_system_sgpr_workgroup_info 0
		.amdhsa_system_vgpr_workitem_id 0
		.amdhsa_next_free_vgpr 9
		.amdhsa_next_free_sgpr 16
		.amdhsa_reserve_vcc 1
		.amdhsa_float_round_mode_32 0
		.amdhsa_float_round_mode_16_64 0
		.amdhsa_float_denorm_mode_32 3
		.amdhsa_float_denorm_mode_16_64 3
		.amdhsa_dx10_clamp 1
		.amdhsa_ieee_mode 1
		.amdhsa_fp16_overflow 0
		.amdhsa_workgroup_processor_mode 1
		.amdhsa_memory_ordered 1
		.amdhsa_forward_progress 0
		.amdhsa_shared_vgpr_count 0
		.amdhsa_exception_fp_ieee_invalid_op 0
		.amdhsa_exception_fp_denorm_src 0
		.amdhsa_exception_fp_ieee_div_zero 0
		.amdhsa_exception_fp_ieee_overflow 0
		.amdhsa_exception_fp_ieee_underflow 0
		.amdhsa_exception_fp_ieee_inexact 0
		.amdhsa_exception_int_div_zero 0
	.end_amdhsa_kernel
	.section	.text._Z6kernelI23blocked_to_warp_stripediLj256ELj2ELj100EEvPKT0_PKjPS1_,"axG",@progbits,_Z6kernelI23blocked_to_warp_stripediLj256ELj2ELj100EEvPKT0_PKjPS1_,comdat
.Lfunc_end61:
	.size	_Z6kernelI23blocked_to_warp_stripediLj256ELj2ELj100EEvPKT0_PKjPS1_, .Lfunc_end61-_Z6kernelI23blocked_to_warp_stripediLj256ELj2ELj100EEvPKT0_PKjPS1_
                                        ; -- End function
	.section	.AMDGPU.csdata,"",@progbits
; Kernel info:
; codeLenInByte = 292
; NumSgprs: 18
; NumVgprs: 9
; ScratchSize: 0
; MemoryBound: 0
; FloatMode: 240
; IeeeMode: 1
; LDSByteSize: 2112 bytes/workgroup (compile time only)
; SGPRBlocks: 2
; VGPRBlocks: 1
; NumSGPRsForWavesPerEU: 18
; NumVGPRsForWavesPerEU: 9
; Occupancy: 16
; WaveLimiterHint : 1
; COMPUTE_PGM_RSRC2:SCRATCH_EN: 0
; COMPUTE_PGM_RSRC2:USER_SGPR: 15
; COMPUTE_PGM_RSRC2:TRAP_HANDLER: 0
; COMPUTE_PGM_RSRC2:TGID_X_EN: 1
; COMPUTE_PGM_RSRC2:TGID_Y_EN: 0
; COMPUTE_PGM_RSRC2:TGID_Z_EN: 0
; COMPUTE_PGM_RSRC2:TIDIG_COMP_CNT: 0
	.section	.text._Z6kernelI23blocked_to_warp_stripediLj256ELj3ELj100EEvPKT0_PKjPS1_,"axG",@progbits,_Z6kernelI23blocked_to_warp_stripediLj256ELj3ELj100EEvPKT0_PKjPS1_,comdat
	.protected	_Z6kernelI23blocked_to_warp_stripediLj256ELj3ELj100EEvPKT0_PKjPS1_ ; -- Begin function _Z6kernelI23blocked_to_warp_stripediLj256ELj3ELj100EEvPKT0_PKjPS1_
	.globl	_Z6kernelI23blocked_to_warp_stripediLj256ELj3ELj100EEvPKT0_PKjPS1_
	.p2align	8
	.type	_Z6kernelI23blocked_to_warp_stripediLj256ELj3ELj100EEvPKT0_PKjPS1_,@function
_Z6kernelI23blocked_to_warp_stripediLj256ELj3ELj100EEvPKT0_PKjPS1_: ; @_Z6kernelI23blocked_to_warp_stripediLj256ELj3ELj100EEvPKT0_PKjPS1_
; %bb.0:
	s_load_b64 s[4:5], s[0:1], 0x0
	v_mul_u32_u24_e32 v1, 3, v0
	s_mul_i32 s2, s15, 0x300
	s_mov_b32 s3, 0
	v_lshrrev_b32_e32 v4, 5, v0
	s_lshl_b64 s[2:3], s[2:3], 2
	v_lshlrev_b32_e32 v1, 2, v1
	s_delay_alu instid0(VALU_DEP_2) | instskip(SKIP_1) | instid1(VALU_DEP_2)
	v_mul_u32_u24_e32 v5, 0x60, v4
	v_mbcnt_lo_u32_b32 v4, -1, 0
	v_lshlrev_b32_e32 v6, 2, v5
	s_delay_alu instid0(VALU_DEP_2) | instskip(NEXT) | instid1(VALU_DEP_2)
	v_or_b32_e32 v7, v4, v5
	v_mad_u32_u24 v5, v4, 12, v6
	s_waitcnt lgkmcnt(0)
	s_add_u32 s4, s4, s2
	s_addc_u32 s5, s5, s3
	v_lshlrev_b32_e32 v6, 2, v7
	global_load_b96 v[1:3], v1, s[4:5]
	s_movk_i32 s4, 0x64
.LBB62_1:                               ; =>This Inner Loop Header: Depth=1
	s_waitcnt vmcnt(0)
	ds_store_2addr_b32 v5, v1, v2 offset1:1
	ds_store_b32 v5, v3 offset:8
	; wave barrier
	ds_load_2addr_b32 v[1:2], v6 offset1:32
	ds_load_b32 v3, v6 offset:256
	s_add_i32 s4, s4, -1
	s_waitcnt lgkmcnt(0)
	s_cmp_lg_u32 s4, 0
	s_barrier
	buffer_gl0_inv
	s_cbranch_scc1 .LBB62_1
; %bb.2:
	s_load_b64 s[0:1], s[0:1], 0x10
	v_and_b32_e32 v0, 0xe0, v0
	v_lshlrev_b32_e32 v4, 2, v4
	s_delay_alu instid0(VALU_DEP_2) | instskip(NEXT) | instid1(VALU_DEP_1)
	v_mul_u32_u24_e32 v0, 3, v0
	v_lshlrev_b32_e32 v0, 2, v0
	s_waitcnt lgkmcnt(0)
	s_add_u32 s0, s0, s2
	s_addc_u32 s1, s1, s3
	v_add_co_u32 v4, s0, s0, v4
	s_delay_alu instid0(VALU_DEP_1) | instskip(NEXT) | instid1(VALU_DEP_2)
	v_add_co_ci_u32_e64 v5, null, s1, 0, s0
	v_add_co_u32 v4, vcc_lo, v4, v0
	s_delay_alu instid0(VALU_DEP_2)
	v_add_co_ci_u32_e32 v5, vcc_lo, 0, v5, vcc_lo
	s_clause 0x2
	global_store_b32 v[4:5], v1, off
	global_store_b32 v[4:5], v2, off offset:128
	global_store_b32 v[4:5], v3, off offset:256
	s_nop 0
	s_sendmsg sendmsg(MSG_DEALLOC_VGPRS)
	s_endpgm
	.section	.rodata,"a",@progbits
	.p2align	6, 0x0
	.amdhsa_kernel _Z6kernelI23blocked_to_warp_stripediLj256ELj3ELj100EEvPKT0_PKjPS1_
		.amdhsa_group_segment_fixed_size 3072
		.amdhsa_private_segment_fixed_size 0
		.amdhsa_kernarg_size 24
		.amdhsa_user_sgpr_count 15
		.amdhsa_user_sgpr_dispatch_ptr 0
		.amdhsa_user_sgpr_queue_ptr 0
		.amdhsa_user_sgpr_kernarg_segment_ptr 1
		.amdhsa_user_sgpr_dispatch_id 0
		.amdhsa_user_sgpr_private_segment_size 0
		.amdhsa_wavefront_size32 1
		.amdhsa_uses_dynamic_stack 0
		.amdhsa_enable_private_segment 0
		.amdhsa_system_sgpr_workgroup_id_x 1
		.amdhsa_system_sgpr_workgroup_id_y 0
		.amdhsa_system_sgpr_workgroup_id_z 0
		.amdhsa_system_sgpr_workgroup_info 0
		.amdhsa_system_vgpr_workitem_id 0
		.amdhsa_next_free_vgpr 8
		.amdhsa_next_free_sgpr 16
		.amdhsa_reserve_vcc 1
		.amdhsa_float_round_mode_32 0
		.amdhsa_float_round_mode_16_64 0
		.amdhsa_float_denorm_mode_32 3
		.amdhsa_float_denorm_mode_16_64 3
		.amdhsa_dx10_clamp 1
		.amdhsa_ieee_mode 1
		.amdhsa_fp16_overflow 0
		.amdhsa_workgroup_processor_mode 1
		.amdhsa_memory_ordered 1
		.amdhsa_forward_progress 0
		.amdhsa_shared_vgpr_count 0
		.amdhsa_exception_fp_ieee_invalid_op 0
		.amdhsa_exception_fp_denorm_src 0
		.amdhsa_exception_fp_ieee_div_zero 0
		.amdhsa_exception_fp_ieee_overflow 0
		.amdhsa_exception_fp_ieee_underflow 0
		.amdhsa_exception_fp_ieee_inexact 0
		.amdhsa_exception_int_div_zero 0
	.end_amdhsa_kernel
	.section	.text._Z6kernelI23blocked_to_warp_stripediLj256ELj3ELj100EEvPKT0_PKjPS1_,"axG",@progbits,_Z6kernelI23blocked_to_warp_stripediLj256ELj3ELj100EEvPKT0_PKjPS1_,comdat
.Lfunc_end62:
	.size	_Z6kernelI23blocked_to_warp_stripediLj256ELj3ELj100EEvPKT0_PKjPS1_, .Lfunc_end62-_Z6kernelI23blocked_to_warp_stripediLj256ELj3ELj100EEvPKT0_PKjPS1_
                                        ; -- End function
	.section	.AMDGPU.csdata,"",@progbits
; Kernel info:
; codeLenInByte = 288
; NumSgprs: 18
; NumVgprs: 8
; ScratchSize: 0
; MemoryBound: 0
; FloatMode: 240
; IeeeMode: 1
; LDSByteSize: 3072 bytes/workgroup (compile time only)
; SGPRBlocks: 2
; VGPRBlocks: 0
; NumSGPRsForWavesPerEU: 18
; NumVGPRsForWavesPerEU: 8
; Occupancy: 16
; WaveLimiterHint : 1
; COMPUTE_PGM_RSRC2:SCRATCH_EN: 0
; COMPUTE_PGM_RSRC2:USER_SGPR: 15
; COMPUTE_PGM_RSRC2:TRAP_HANDLER: 0
; COMPUTE_PGM_RSRC2:TGID_X_EN: 1
; COMPUTE_PGM_RSRC2:TGID_Y_EN: 0
; COMPUTE_PGM_RSRC2:TGID_Z_EN: 0
; COMPUTE_PGM_RSRC2:TIDIG_COMP_CNT: 0
	.section	.text._Z6kernelI23blocked_to_warp_stripediLj256ELj4ELj100EEvPKT0_PKjPS1_,"axG",@progbits,_Z6kernelI23blocked_to_warp_stripediLj256ELj4ELj100EEvPKT0_PKjPS1_,comdat
	.protected	_Z6kernelI23blocked_to_warp_stripediLj256ELj4ELj100EEvPKT0_PKjPS1_ ; -- Begin function _Z6kernelI23blocked_to_warp_stripediLj256ELj4ELj100EEvPKT0_PKjPS1_
	.globl	_Z6kernelI23blocked_to_warp_stripediLj256ELj4ELj100EEvPKT0_PKjPS1_
	.p2align	8
	.type	_Z6kernelI23blocked_to_warp_stripediLj256ELj4ELj100EEvPKT0_PKjPS1_,@function
_Z6kernelI23blocked_to_warp_stripediLj256ELj4ELj100EEvPKT0_PKjPS1_: ; @_Z6kernelI23blocked_to_warp_stripediLj256ELj4ELj100EEvPKT0_PKjPS1_
; %bb.0:
	s_load_b64 s[4:5], s[0:1], 0x0
	s_lshl_b32 s2, s15, 10
	s_mov_b32 s3, 0
	v_lshlrev_b32_e32 v1, 4, v0
	s_lshl_b64 s[2:3], s[2:3], 2
	v_mbcnt_lo_u32_b32 v5, -1, 0
	s_delay_alu instid0(VALU_DEP_1) | instskip(SKIP_1) | instid1(VALU_DEP_2)
	v_and_or_b32 v6, 0xe0, v0, v5
	v_lshlrev_b32_e32 v0, 2, v0
	v_lshrrev_b16 v7, 1, v6
	s_delay_alu instid0(VALU_DEP_2) | instskip(NEXT) | instid1(VALU_DEP_2)
	v_and_b32_e32 v0, 0x380, v0
	v_and_b32_e32 v7, 0x7c, v7
	s_waitcnt lgkmcnt(0)
	s_add_u32 s4, s4, s2
	s_addc_u32 s5, s5, s3
	v_or_b32_e32 v8, 32, v0
	global_load_b128 v[1:4], v1, s[4:5]
	v_or_b32_e32 v9, 64, v0
	v_or_b32_e32 v10, 0x60, v0
	;; [unrolled: 1-line block ×3, first 2 shown]
	v_lshrrev_b32_e32 v12, 5, v0
	v_lshrrev_b32_e32 v8, 5, v8
	;; [unrolled: 1-line block ×4, first 2 shown]
	v_lshl_add_u32 v6, v6, 4, v7
	v_add_lshl_u32 v7, v12, v11, 2
	v_add_lshl_u32 v8, v8, v11, 2
	;; [unrolled: 1-line block ×4, first 2 shown]
	s_movk_i32 s4, 0x64
.LBB63_1:                               ; =>This Inner Loop Header: Depth=1
	s_waitcnt vmcnt(0)
	ds_store_2addr_b32 v6, v1, v2 offset1:1
	ds_store_2addr_b32 v6, v3, v4 offset0:2 offset1:3
	; wave barrier
	ds_load_b32 v1, v7
	ds_load_b32 v2, v8 offset:128
	ds_load_b32 v3, v9 offset:256
	;; [unrolled: 1-line block ×3, first 2 shown]
	s_add_i32 s4, s4, -1
	s_waitcnt lgkmcnt(0)
	s_cmp_lg_u32 s4, 0
	s_barrier
	buffer_gl0_inv
	s_cbranch_scc1 .LBB63_1
; %bb.2:
	s_load_b64 s[0:1], s[0:1], 0x10
	v_lshlrev_b32_e32 v5, 2, v5
	v_lshlrev_b32_e32 v0, 2, v0
	s_waitcnt lgkmcnt(0)
	s_add_u32 s0, s0, s2
	s_addc_u32 s1, s1, s3
	v_add_co_u32 v5, s0, s0, v5
	s_delay_alu instid0(VALU_DEP_1) | instskip(NEXT) | instid1(VALU_DEP_2)
	v_add_co_ci_u32_e64 v6, null, s1, 0, s0
	v_add_co_u32 v5, vcc_lo, v5, v0
	s_delay_alu instid0(VALU_DEP_2)
	v_add_co_ci_u32_e32 v6, vcc_lo, 0, v6, vcc_lo
	s_clause 0x3
	global_store_b32 v[5:6], v1, off
	global_store_b32 v[5:6], v2, off offset:128
	global_store_b32 v[5:6], v3, off offset:256
	;; [unrolled: 1-line block ×3, first 2 shown]
	s_nop 0
	s_sendmsg sendmsg(MSG_DEALLOC_VGPRS)
	s_endpgm
	.section	.rodata,"a",@progbits
	.p2align	6, 0x0
	.amdhsa_kernel _Z6kernelI23blocked_to_warp_stripediLj256ELj4ELj100EEvPKT0_PKjPS1_
		.amdhsa_group_segment_fixed_size 4224
		.amdhsa_private_segment_fixed_size 0
		.amdhsa_kernarg_size 24
		.amdhsa_user_sgpr_count 15
		.amdhsa_user_sgpr_dispatch_ptr 0
		.amdhsa_user_sgpr_queue_ptr 0
		.amdhsa_user_sgpr_kernarg_segment_ptr 1
		.amdhsa_user_sgpr_dispatch_id 0
		.amdhsa_user_sgpr_private_segment_size 0
		.amdhsa_wavefront_size32 1
		.amdhsa_uses_dynamic_stack 0
		.amdhsa_enable_private_segment 0
		.amdhsa_system_sgpr_workgroup_id_x 1
		.amdhsa_system_sgpr_workgroup_id_y 0
		.amdhsa_system_sgpr_workgroup_id_z 0
		.amdhsa_system_sgpr_workgroup_info 0
		.amdhsa_system_vgpr_workitem_id 0
		.amdhsa_next_free_vgpr 13
		.amdhsa_next_free_sgpr 16
		.amdhsa_reserve_vcc 1
		.amdhsa_float_round_mode_32 0
		.amdhsa_float_round_mode_16_64 0
		.amdhsa_float_denorm_mode_32 3
		.amdhsa_float_denorm_mode_16_64 3
		.amdhsa_dx10_clamp 1
		.amdhsa_ieee_mode 1
		.amdhsa_fp16_overflow 0
		.amdhsa_workgroup_processor_mode 1
		.amdhsa_memory_ordered 1
		.amdhsa_forward_progress 0
		.amdhsa_shared_vgpr_count 0
		.amdhsa_exception_fp_ieee_invalid_op 0
		.amdhsa_exception_fp_denorm_src 0
		.amdhsa_exception_fp_ieee_div_zero 0
		.amdhsa_exception_fp_ieee_overflow 0
		.amdhsa_exception_fp_ieee_underflow 0
		.amdhsa_exception_fp_ieee_inexact 0
		.amdhsa_exception_int_div_zero 0
	.end_amdhsa_kernel
	.section	.text._Z6kernelI23blocked_to_warp_stripediLj256ELj4ELj100EEvPKT0_PKjPS1_,"axG",@progbits,_Z6kernelI23blocked_to_warp_stripediLj256ELj4ELj100EEvPKT0_PKjPS1_,comdat
.Lfunc_end63:
	.size	_Z6kernelI23blocked_to_warp_stripediLj256ELj4ELj100EEvPKT0_PKjPS1_, .Lfunc_end63-_Z6kernelI23blocked_to_warp_stripediLj256ELj4ELj100EEvPKT0_PKjPS1_
                                        ; -- End function
	.section	.AMDGPU.csdata,"",@progbits
; Kernel info:
; codeLenInByte = 372
; NumSgprs: 18
; NumVgprs: 13
; ScratchSize: 0
; MemoryBound: 0
; FloatMode: 240
; IeeeMode: 1
; LDSByteSize: 4224 bytes/workgroup (compile time only)
; SGPRBlocks: 2
; VGPRBlocks: 1
; NumSGPRsForWavesPerEU: 18
; NumVGPRsForWavesPerEU: 13
; Occupancy: 16
; WaveLimiterHint : 1
; COMPUTE_PGM_RSRC2:SCRATCH_EN: 0
; COMPUTE_PGM_RSRC2:USER_SGPR: 15
; COMPUTE_PGM_RSRC2:TRAP_HANDLER: 0
; COMPUTE_PGM_RSRC2:TGID_X_EN: 1
; COMPUTE_PGM_RSRC2:TGID_Y_EN: 0
; COMPUTE_PGM_RSRC2:TGID_Z_EN: 0
; COMPUTE_PGM_RSRC2:TIDIG_COMP_CNT: 0
	.section	.text._Z6kernelI23blocked_to_warp_stripediLj256ELj7ELj100EEvPKT0_PKjPS1_,"axG",@progbits,_Z6kernelI23blocked_to_warp_stripediLj256ELj7ELj100EEvPKT0_PKjPS1_,comdat
	.protected	_Z6kernelI23blocked_to_warp_stripediLj256ELj7ELj100EEvPKT0_PKjPS1_ ; -- Begin function _Z6kernelI23blocked_to_warp_stripediLj256ELj7ELj100EEvPKT0_PKjPS1_
	.globl	_Z6kernelI23blocked_to_warp_stripediLj256ELj7ELj100EEvPKT0_PKjPS1_
	.p2align	8
	.type	_Z6kernelI23blocked_to_warp_stripediLj256ELj7ELj100EEvPKT0_PKjPS1_,@function
_Z6kernelI23blocked_to_warp_stripediLj256ELj7ELj100EEvPKT0_PKjPS1_: ; @_Z6kernelI23blocked_to_warp_stripediLj256ELj7ELj100EEvPKT0_PKjPS1_
; %bb.0:
	s_load_b64 s[4:5], s[0:1], 0x0
	v_mul_u32_u24_e32 v1, 7, v0
	s_mov_b32 s3, 0
	s_mul_i32 s2, s15, 0x700
	v_lshrrev_b32_e32 v8, 5, v0
	s_lshl_b64 s[2:3], s[2:3], 2
	v_lshlrev_b32_e32 v5, 2, v1
	s_delay_alu instid0(VALU_DEP_2) | instskip(SKIP_1) | instid1(VALU_DEP_2)
	v_mul_u32_u24_e32 v9, 0xe0, v8
	v_mbcnt_lo_u32_b32 v8, -1, 0
	v_lshlrev_b32_e32 v10, 2, v9
	s_delay_alu instid0(VALU_DEP_2) | instskip(NEXT) | instid1(VALU_DEP_2)
	v_or_b32_e32 v11, v8, v9
	v_mad_u32_u24 v9, v8, 28, v10
	s_waitcnt lgkmcnt(0)
	s_add_u32 s4, s4, s2
	s_addc_u32 s5, s5, s3
	v_lshlrev_b32_e32 v10, 2, v11
	s_clause 0x1
	global_load_b128 v[1:4], v5, s[4:5]
	global_load_b96 v[5:7], v5, s[4:5] offset:16
	s_movk_i32 s4, 0x64
	.p2align	6
.LBB64_1:                               ; =>This Inner Loop Header: Depth=1
	s_waitcnt vmcnt(1)
	ds_store_2addr_b32 v9, v1, v2 offset1:1
	ds_store_2addr_b32 v9, v3, v4 offset0:2 offset1:3
	s_waitcnt vmcnt(0)
	ds_store_2addr_b32 v9, v5, v6 offset0:4 offset1:5
	ds_store_b32 v9, v7 offset:24
	; wave barrier
	ds_load_2addr_b32 v[1:2], v10 offset1:32
	ds_load_2addr_b32 v[3:4], v10 offset0:64 offset1:96
	ds_load_2addr_b32 v[5:6], v10 offset0:128 offset1:160
	ds_load_b32 v7, v10 offset:768
	s_add_i32 s4, s4, -1
	s_waitcnt lgkmcnt(0)
	s_cmp_lg_u32 s4, 0
	s_barrier
	buffer_gl0_inv
	s_cbranch_scc1 .LBB64_1
; %bb.2:
	s_load_b64 s[0:1], s[0:1], 0x10
	v_and_b32_e32 v0, 0xe0, v0
	v_lshlrev_b32_e32 v8, 2, v8
	s_delay_alu instid0(VALU_DEP_2) | instskip(NEXT) | instid1(VALU_DEP_1)
	v_mul_u32_u24_e32 v0, 7, v0
	v_lshlrev_b32_e32 v0, 2, v0
	s_waitcnt lgkmcnt(0)
	s_add_u32 s0, s0, s2
	s_addc_u32 s1, s1, s3
	v_add_co_u32 v8, s0, s0, v8
	s_delay_alu instid0(VALU_DEP_1) | instskip(NEXT) | instid1(VALU_DEP_2)
	v_add_co_ci_u32_e64 v9, null, s1, 0, s0
	v_add_co_u32 v8, vcc_lo, v8, v0
	s_delay_alu instid0(VALU_DEP_2)
	v_add_co_ci_u32_e32 v9, vcc_lo, 0, v9, vcc_lo
	s_clause 0x6
	global_store_b32 v[8:9], v1, off
	global_store_b32 v[8:9], v2, off offset:128
	global_store_b32 v[8:9], v3, off offset:256
	;; [unrolled: 1-line block ×6, first 2 shown]
	s_nop 0
	s_sendmsg sendmsg(MSG_DEALLOC_VGPRS)
	s_endpgm
	.section	.rodata,"a",@progbits
	.p2align	6, 0x0
	.amdhsa_kernel _Z6kernelI23blocked_to_warp_stripediLj256ELj7ELj100EEvPKT0_PKjPS1_
		.amdhsa_group_segment_fixed_size 7168
		.amdhsa_private_segment_fixed_size 0
		.amdhsa_kernarg_size 24
		.amdhsa_user_sgpr_count 15
		.amdhsa_user_sgpr_dispatch_ptr 0
		.amdhsa_user_sgpr_queue_ptr 0
		.amdhsa_user_sgpr_kernarg_segment_ptr 1
		.amdhsa_user_sgpr_dispatch_id 0
		.amdhsa_user_sgpr_private_segment_size 0
		.amdhsa_wavefront_size32 1
		.amdhsa_uses_dynamic_stack 0
		.amdhsa_enable_private_segment 0
		.amdhsa_system_sgpr_workgroup_id_x 1
		.amdhsa_system_sgpr_workgroup_id_y 0
		.amdhsa_system_sgpr_workgroup_id_z 0
		.amdhsa_system_sgpr_workgroup_info 0
		.amdhsa_system_vgpr_workitem_id 0
		.amdhsa_next_free_vgpr 12
		.amdhsa_next_free_sgpr 16
		.amdhsa_reserve_vcc 1
		.amdhsa_float_round_mode_32 0
		.amdhsa_float_round_mode_16_64 0
		.amdhsa_float_denorm_mode_32 3
		.amdhsa_float_denorm_mode_16_64 3
		.amdhsa_dx10_clamp 1
		.amdhsa_ieee_mode 1
		.amdhsa_fp16_overflow 0
		.amdhsa_workgroup_processor_mode 1
		.amdhsa_memory_ordered 1
		.amdhsa_forward_progress 0
		.amdhsa_shared_vgpr_count 0
		.amdhsa_exception_fp_ieee_invalid_op 0
		.amdhsa_exception_fp_denorm_src 0
		.amdhsa_exception_fp_ieee_div_zero 0
		.amdhsa_exception_fp_ieee_overflow 0
		.amdhsa_exception_fp_ieee_underflow 0
		.amdhsa_exception_fp_ieee_inexact 0
		.amdhsa_exception_int_div_zero 0
	.end_amdhsa_kernel
	.section	.text._Z6kernelI23blocked_to_warp_stripediLj256ELj7ELj100EEvPKT0_PKjPS1_,"axG",@progbits,_Z6kernelI23blocked_to_warp_stripediLj256ELj7ELj100EEvPKT0_PKjPS1_,comdat
.Lfunc_end64:
	.size	_Z6kernelI23blocked_to_warp_stripediLj256ELj7ELj100EEvPKT0_PKjPS1_, .Lfunc_end64-_Z6kernelI23blocked_to_warp_stripediLj256ELj7ELj100EEvPKT0_PKjPS1_
                                        ; -- End function
	.section	.AMDGPU.csdata,"",@progbits
; Kernel info:
; codeLenInByte = 368
; NumSgprs: 18
; NumVgprs: 12
; ScratchSize: 0
; MemoryBound: 0
; FloatMode: 240
; IeeeMode: 1
; LDSByteSize: 7168 bytes/workgroup (compile time only)
; SGPRBlocks: 2
; VGPRBlocks: 1
; NumSGPRsForWavesPerEU: 18
; NumVGPRsForWavesPerEU: 12
; Occupancy: 16
; WaveLimiterHint : 1
; COMPUTE_PGM_RSRC2:SCRATCH_EN: 0
; COMPUTE_PGM_RSRC2:USER_SGPR: 15
; COMPUTE_PGM_RSRC2:TRAP_HANDLER: 0
; COMPUTE_PGM_RSRC2:TGID_X_EN: 1
; COMPUTE_PGM_RSRC2:TGID_Y_EN: 0
; COMPUTE_PGM_RSRC2:TGID_Z_EN: 0
; COMPUTE_PGM_RSRC2:TIDIG_COMP_CNT: 0
	.section	.text._Z6kernelI23blocked_to_warp_stripediLj256ELj8ELj100EEvPKT0_PKjPS1_,"axG",@progbits,_Z6kernelI23blocked_to_warp_stripediLj256ELj8ELj100EEvPKT0_PKjPS1_,comdat
	.protected	_Z6kernelI23blocked_to_warp_stripediLj256ELj8ELj100EEvPKT0_PKjPS1_ ; -- Begin function _Z6kernelI23blocked_to_warp_stripediLj256ELj8ELj100EEvPKT0_PKjPS1_
	.globl	_Z6kernelI23blocked_to_warp_stripediLj256ELj8ELj100EEvPKT0_PKjPS1_
	.p2align	8
	.type	_Z6kernelI23blocked_to_warp_stripediLj256ELj8ELj100EEvPKT0_PKjPS1_,@function
_Z6kernelI23blocked_to_warp_stripediLj256ELj8ELj100EEvPKT0_PKjPS1_: ; @_Z6kernelI23blocked_to_warp_stripediLj256ELj8ELj100EEvPKT0_PKjPS1_
; %bb.0:
	s_load_b64 s[4:5], s[0:1], 0x0
	s_mov_b32 s3, 0
	s_lshl_b32 s2, s15, 11
	v_lshlrev_b32_e32 v5, 5, v0
	s_lshl_b64 s[2:3], s[2:3], 2
	v_lshlrev_b32_e32 v10, 3, v0
	v_mbcnt_lo_u32_b32 v9, -1, 0
	s_delay_alu instid0(VALU_DEP_2) | instskip(NEXT) | instid1(VALU_DEP_2)
	v_and_b32_e32 v10, 0x700, v10
	v_and_or_b32 v0, 0xe0, v0, v9
	s_delay_alu instid0(VALU_DEP_2) | instskip(SKIP_1) | instid1(VALU_DEP_3)
	v_or_b32_e32 v11, 32, v10
	v_or_b32_e32 v12, 64, v10
	v_and_b32_e32 v13, 0xfc, v0
	v_or_b32_e32 v18, v9, v10
	v_lshrrev_b32_e32 v14, 5, v10
	s_waitcnt lgkmcnt(0)
	s_add_u32 s4, s4, s2
	s_addc_u32 s5, s5, s3
	v_lshrrev_b32_e32 v15, 5, v11
	s_clause 0x1
	global_load_b128 v[1:4], v5, s[4:5]
	global_load_b128 v[5:8], v5, s[4:5] offset:16
	v_lshrrev_b32_e32 v16, 5, v12
	v_lshl_add_u32 v0, v0, 5, v13
	v_add_lshl_u32 v11, v14, v18, 2
	v_add_lshl_u32 v12, v15, v18, 2
	v_or_b32_e32 v14, 0x60, v10
	v_add_lshl_u32 v13, v16, v18, 2
	v_or_b32_e32 v15, 0x80, v10
	v_or_b32_e32 v16, 0xa0, v10
	;; [unrolled: 1-line block ×4, first 2 shown]
	v_lshrrev_b32_e32 v14, 5, v14
	v_lshrrev_b32_e32 v15, 5, v15
	;; [unrolled: 1-line block ×5, first 2 shown]
	v_add_lshl_u32 v14, v14, v18, 2
	v_add_lshl_u32 v15, v15, v18, 2
	;; [unrolled: 1-line block ×5, first 2 shown]
	s_movk_i32 s4, 0x64
	.p2align	6
.LBB65_1:                               ; =>This Inner Loop Header: Depth=1
	s_waitcnt vmcnt(1)
	ds_store_2addr_b32 v0, v1, v2 offset1:1
	ds_store_2addr_b32 v0, v3, v4 offset0:2 offset1:3
	s_waitcnt vmcnt(0)
	ds_store_2addr_b32 v0, v5, v6 offset0:4 offset1:5
	ds_store_2addr_b32 v0, v7, v8 offset0:6 offset1:7
	; wave barrier
	ds_load_b32 v1, v11
	ds_load_b32 v2, v12 offset:128
	ds_load_b32 v3, v13 offset:256
	;; [unrolled: 1-line block ×7, first 2 shown]
	s_add_i32 s4, s4, -1
	s_waitcnt lgkmcnt(0)
	s_cmp_lg_u32 s4, 0
	s_barrier
	buffer_gl0_inv
	s_cbranch_scc1 .LBB65_1
; %bb.2:
	s_load_b64 s[0:1], s[0:1], 0x10
	v_lshlrev_b32_e32 v0, 2, v9
	v_lshlrev_b32_e32 v9, 2, v10
	s_waitcnt lgkmcnt(0)
	s_add_u32 s0, s0, s2
	s_addc_u32 s1, s1, s3
	v_add_co_u32 v0, s0, s0, v0
	s_delay_alu instid0(VALU_DEP_1) | instskip(NEXT) | instid1(VALU_DEP_2)
	v_add_co_ci_u32_e64 v10, null, s1, 0, s0
	v_add_co_u32 v9, vcc_lo, v0, v9
	s_delay_alu instid0(VALU_DEP_2)
	v_add_co_ci_u32_e32 v10, vcc_lo, 0, v10, vcc_lo
	s_clause 0x7
	global_store_b32 v[9:10], v1, off
	global_store_b32 v[9:10], v2, off offset:128
	global_store_b32 v[9:10], v3, off offset:256
	;; [unrolled: 1-line block ×7, first 2 shown]
	s_nop 0
	s_sendmsg sendmsg(MSG_DEALLOC_VGPRS)
	s_endpgm
	.section	.rodata,"a",@progbits
	.p2align	6, 0x0
	.amdhsa_kernel _Z6kernelI23blocked_to_warp_stripediLj256ELj8ELj100EEvPKT0_PKjPS1_
		.amdhsa_group_segment_fixed_size 8448
		.amdhsa_private_segment_fixed_size 0
		.amdhsa_kernarg_size 24
		.amdhsa_user_sgpr_count 15
		.amdhsa_user_sgpr_dispatch_ptr 0
		.amdhsa_user_sgpr_queue_ptr 0
		.amdhsa_user_sgpr_kernarg_segment_ptr 1
		.amdhsa_user_sgpr_dispatch_id 0
		.amdhsa_user_sgpr_private_segment_size 0
		.amdhsa_wavefront_size32 1
		.amdhsa_uses_dynamic_stack 0
		.amdhsa_enable_private_segment 0
		.amdhsa_system_sgpr_workgroup_id_x 1
		.amdhsa_system_sgpr_workgroup_id_y 0
		.amdhsa_system_sgpr_workgroup_id_z 0
		.amdhsa_system_sgpr_workgroup_info 0
		.amdhsa_system_vgpr_workitem_id 0
		.amdhsa_next_free_vgpr 20
		.amdhsa_next_free_sgpr 16
		.amdhsa_reserve_vcc 1
		.amdhsa_float_round_mode_32 0
		.amdhsa_float_round_mode_16_64 0
		.amdhsa_float_denorm_mode_32 3
		.amdhsa_float_denorm_mode_16_64 3
		.amdhsa_dx10_clamp 1
		.amdhsa_ieee_mode 1
		.amdhsa_fp16_overflow 0
		.amdhsa_workgroup_processor_mode 1
		.amdhsa_memory_ordered 1
		.amdhsa_forward_progress 0
		.amdhsa_shared_vgpr_count 0
		.amdhsa_exception_fp_ieee_invalid_op 0
		.amdhsa_exception_fp_denorm_src 0
		.amdhsa_exception_fp_ieee_div_zero 0
		.amdhsa_exception_fp_ieee_overflow 0
		.amdhsa_exception_fp_ieee_underflow 0
		.amdhsa_exception_fp_ieee_inexact 0
		.amdhsa_exception_int_div_zero 0
	.end_amdhsa_kernel
	.section	.text._Z6kernelI23blocked_to_warp_stripediLj256ELj8ELj100EEvPKT0_PKjPS1_,"axG",@progbits,_Z6kernelI23blocked_to_warp_stripediLj256ELj8ELj100EEvPKT0_PKjPS1_,comdat
.Lfunc_end65:
	.size	_Z6kernelI23blocked_to_warp_stripediLj256ELj8ELj100EEvPKT0_PKjPS1_, .Lfunc_end65-_Z6kernelI23blocked_to_warp_stripediLj256ELj8ELj100EEvPKT0_PKjPS1_
                                        ; -- End function
	.section	.AMDGPU.csdata,"",@progbits
; Kernel info:
; codeLenInByte = 540
; NumSgprs: 18
; NumVgprs: 20
; ScratchSize: 0
; MemoryBound: 0
; FloatMode: 240
; IeeeMode: 1
; LDSByteSize: 8448 bytes/workgroup (compile time only)
; SGPRBlocks: 2
; VGPRBlocks: 2
; NumSGPRsForWavesPerEU: 18
; NumVGPRsForWavesPerEU: 20
; Occupancy: 16
; WaveLimiterHint : 1
; COMPUTE_PGM_RSRC2:SCRATCH_EN: 0
; COMPUTE_PGM_RSRC2:USER_SGPR: 15
; COMPUTE_PGM_RSRC2:TRAP_HANDLER: 0
; COMPUTE_PGM_RSRC2:TGID_X_EN: 1
; COMPUTE_PGM_RSRC2:TGID_Y_EN: 0
; COMPUTE_PGM_RSRC2:TGID_Z_EN: 0
; COMPUTE_PGM_RSRC2:TIDIG_COMP_CNT: 0
	.section	.text._Z6kernelI23blocked_to_warp_stripedaLj256ELj1ELj100EEvPKT0_PKjPS1_,"axG",@progbits,_Z6kernelI23blocked_to_warp_stripedaLj256ELj1ELj100EEvPKT0_PKjPS1_,comdat
	.protected	_Z6kernelI23blocked_to_warp_stripedaLj256ELj1ELj100EEvPKT0_PKjPS1_ ; -- Begin function _Z6kernelI23blocked_to_warp_stripedaLj256ELj1ELj100EEvPKT0_PKjPS1_
	.globl	_Z6kernelI23blocked_to_warp_stripedaLj256ELj1ELj100EEvPKT0_PKjPS1_
	.p2align	8
	.type	_Z6kernelI23blocked_to_warp_stripedaLj256ELj1ELj100EEvPKT0_PKjPS1_,@function
_Z6kernelI23blocked_to_warp_stripedaLj256ELj1ELj100EEvPKT0_PKjPS1_: ; @_Z6kernelI23blocked_to_warp_stripedaLj256ELj1ELj100EEvPKT0_PKjPS1_
; %bb.0:
	s_load_b64 s[4:5], s[0:1], 0x0
	s_lshl_b32 s2, s15, 8
	v_mbcnt_lo_u32_b32 v2, -1, 0
	s_movk_i32 s3, 0x64
	s_waitcnt lgkmcnt(0)
	s_add_u32 s4, s4, s2
	s_addc_u32 s5, s5, 0
	global_load_u8 v1, v0, s[4:5]
	v_and_b32_e32 v0, 0xe0, v0
	s_delay_alu instid0(VALU_DEP_1)
	v_add_nc_u32_e32 v3, v2, v0
.LBB66_1:                               ; =>This Inner Loop Header: Depth=1
	s_waitcnt vmcnt(0)
	ds_store_b8 v3, v1
	; wave barrier
	ds_load_u8 v1, v3
	s_add_i32 s3, s3, -1
	s_waitcnt lgkmcnt(0)
	s_cmp_lg_u32 s3, 0
	s_barrier
	buffer_gl0_inv
	s_cbranch_scc1 .LBB66_1
; %bb.2:
	s_load_b64 s[0:1], s[0:1], 0x10
	s_waitcnt lgkmcnt(0)
	s_add_u32 s0, s0, s2
	s_addc_u32 s1, s1, 0
	v_add_co_u32 v2, s0, s0, v2
	s_delay_alu instid0(VALU_DEP_1) | instskip(NEXT) | instid1(VALU_DEP_2)
	v_add_co_ci_u32_e64 v3, null, s1, 0, s0
	v_add_co_u32 v2, vcc_lo, v2, v0
	s_delay_alu instid0(VALU_DEP_2)
	v_add_co_ci_u32_e32 v3, vcc_lo, 0, v3, vcc_lo
	global_store_b8 v[2:3], v1, off
	s_nop 0
	s_sendmsg sendmsg(MSG_DEALLOC_VGPRS)
	s_endpgm
	.section	.rodata,"a",@progbits
	.p2align	6, 0x0
	.amdhsa_kernel _Z6kernelI23blocked_to_warp_stripedaLj256ELj1ELj100EEvPKT0_PKjPS1_
		.amdhsa_group_segment_fixed_size 256
		.amdhsa_private_segment_fixed_size 0
		.amdhsa_kernarg_size 24
		.amdhsa_user_sgpr_count 15
		.amdhsa_user_sgpr_dispatch_ptr 0
		.amdhsa_user_sgpr_queue_ptr 0
		.amdhsa_user_sgpr_kernarg_segment_ptr 1
		.amdhsa_user_sgpr_dispatch_id 0
		.amdhsa_user_sgpr_private_segment_size 0
		.amdhsa_wavefront_size32 1
		.amdhsa_uses_dynamic_stack 0
		.amdhsa_enable_private_segment 0
		.amdhsa_system_sgpr_workgroup_id_x 1
		.amdhsa_system_sgpr_workgroup_id_y 0
		.amdhsa_system_sgpr_workgroup_id_z 0
		.amdhsa_system_sgpr_workgroup_info 0
		.amdhsa_system_vgpr_workitem_id 0
		.amdhsa_next_free_vgpr 4
		.amdhsa_next_free_sgpr 16
		.amdhsa_reserve_vcc 1
		.amdhsa_float_round_mode_32 0
		.amdhsa_float_round_mode_16_64 0
		.amdhsa_float_denorm_mode_32 3
		.amdhsa_float_denorm_mode_16_64 3
		.amdhsa_dx10_clamp 1
		.amdhsa_ieee_mode 1
		.amdhsa_fp16_overflow 0
		.amdhsa_workgroup_processor_mode 1
		.amdhsa_memory_ordered 1
		.amdhsa_forward_progress 0
		.amdhsa_shared_vgpr_count 0
		.amdhsa_exception_fp_ieee_invalid_op 0
		.amdhsa_exception_fp_denorm_src 0
		.amdhsa_exception_fp_ieee_div_zero 0
		.amdhsa_exception_fp_ieee_overflow 0
		.amdhsa_exception_fp_ieee_underflow 0
		.amdhsa_exception_fp_ieee_inexact 0
		.amdhsa_exception_int_div_zero 0
	.end_amdhsa_kernel
	.section	.text._Z6kernelI23blocked_to_warp_stripedaLj256ELj1ELj100EEvPKT0_PKjPS1_,"axG",@progbits,_Z6kernelI23blocked_to_warp_stripedaLj256ELj1ELj100EEvPKT0_PKjPS1_,comdat
.Lfunc_end66:
	.size	_Z6kernelI23blocked_to_warp_stripedaLj256ELj1ELj100EEvPKT0_PKjPS1_, .Lfunc_end66-_Z6kernelI23blocked_to_warp_stripedaLj256ELj1ELj100EEvPKT0_PKjPS1_
                                        ; -- End function
	.section	.AMDGPU.csdata,"",@progbits
; Kernel info:
; codeLenInByte = 184
; NumSgprs: 18
; NumVgprs: 4
; ScratchSize: 0
; MemoryBound: 0
; FloatMode: 240
; IeeeMode: 1
; LDSByteSize: 256 bytes/workgroup (compile time only)
; SGPRBlocks: 2
; VGPRBlocks: 0
; NumSGPRsForWavesPerEU: 18
; NumVGPRsForWavesPerEU: 4
; Occupancy: 16
; WaveLimiterHint : 0
; COMPUTE_PGM_RSRC2:SCRATCH_EN: 0
; COMPUTE_PGM_RSRC2:USER_SGPR: 15
; COMPUTE_PGM_RSRC2:TRAP_HANDLER: 0
; COMPUTE_PGM_RSRC2:TGID_X_EN: 1
; COMPUTE_PGM_RSRC2:TGID_Y_EN: 0
; COMPUTE_PGM_RSRC2:TGID_Z_EN: 0
; COMPUTE_PGM_RSRC2:TIDIG_COMP_CNT: 0
	.section	.text._Z6kernelI23blocked_to_warp_stripedaLj256ELj2ELj100EEvPKT0_PKjPS1_,"axG",@progbits,_Z6kernelI23blocked_to_warp_stripedaLj256ELj2ELj100EEvPKT0_PKjPS1_,comdat
	.protected	_Z6kernelI23blocked_to_warp_stripedaLj256ELj2ELj100EEvPKT0_PKjPS1_ ; -- Begin function _Z6kernelI23blocked_to_warp_stripedaLj256ELj2ELj100EEvPKT0_PKjPS1_
	.globl	_Z6kernelI23blocked_to_warp_stripedaLj256ELj2ELj100EEvPKT0_PKjPS1_
	.p2align	8
	.type	_Z6kernelI23blocked_to_warp_stripedaLj256ELj2ELj100EEvPKT0_PKjPS1_,@function
_Z6kernelI23blocked_to_warp_stripedaLj256ELj2ELj100EEvPKT0_PKjPS1_: ; @_Z6kernelI23blocked_to_warp_stripedaLj256ELj2ELj100EEvPKT0_PKjPS1_
; %bb.0:
	s_load_b64 s[4:5], s[0:1], 0x0
	s_lshl_b32 s2, s15, 9
	v_lshlrev_b32_e32 v2, 1, v0
	v_mbcnt_lo_u32_b32 v1, -1, 0
	v_lshrrev_b32_e32 v4, 4, v0
	s_movk_i32 s3, 0x64
	s_delay_alu instid0(VALU_DEP_2) | instskip(NEXT) | instid1(VALU_DEP_2)
	v_and_or_b32 v0, 0xe0, v0, v1
	v_and_b32_e32 v4, 12, v4
	s_delay_alu instid0(VALU_DEP_1)
	v_lshl_add_u32 v0, v0, 1, v4
	s_waitcnt lgkmcnt(0)
	s_add_u32 s4, s4, s2
	s_addc_u32 s5, s5, 0
	global_load_u16 v3, v2, s[4:5]
	v_and_b32_e32 v2, 0x1c0, v2
	s_delay_alu instid0(VALU_DEP_1) | instskip(NEXT) | instid1(VALU_DEP_1)
	v_or_b32_e32 v5, v1, v2
	v_add_nc_u32_e32 v4, v4, v5
.LBB67_1:                               ; =>This Inner Loop Header: Depth=1
	s_waitcnt vmcnt(0)
	ds_store_b16 v0, v3
	; wave barrier
	ds_load_u8 v5, v4 offset:32
	ds_load_u8 v6, v4
	s_add_i32 s3, s3, -1
	s_waitcnt lgkmcnt(0)
	s_cmp_lg_u32 s3, 0
	s_barrier
	buffer_gl0_inv
	v_lshlrev_b16 v3, 8, v5
	s_delay_alu instid0(VALU_DEP_1) | instskip(NEXT) | instid1(VALU_DEP_1)
	v_or_b32_e32 v3, v6, v3
	v_and_b32_e32 v3, 0xffff, v3
	s_cbranch_scc1 .LBB67_1
; %bb.2:
	s_load_b64 s[0:1], s[0:1], 0x10
	s_waitcnt lgkmcnt(0)
	s_add_u32 s0, s0, s2
	s_addc_u32 s1, s1, 0
	v_add_co_u32 v0, s0, s0, v1
	s_delay_alu instid0(VALU_DEP_1) | instskip(NEXT) | instid1(VALU_DEP_2)
	v_add_co_ci_u32_e64 v1, null, s1, 0, s0
	v_add_co_u32 v0, vcc_lo, v0, v2
	s_delay_alu instid0(VALU_DEP_2)
	v_add_co_ci_u32_e32 v1, vcc_lo, 0, v1, vcc_lo
	s_clause 0x1
	global_store_b8 v[0:1], v6, off
	global_store_b8 v[0:1], v5, off offset:32
	s_nop 0
	s_sendmsg sendmsg(MSG_DEALLOC_VGPRS)
	s_endpgm
	.section	.rodata,"a",@progbits
	.p2align	6, 0x0
	.amdhsa_kernel _Z6kernelI23blocked_to_warp_stripedaLj256ELj2ELj100EEvPKT0_PKjPS1_
		.amdhsa_group_segment_fixed_size 528
		.amdhsa_private_segment_fixed_size 0
		.amdhsa_kernarg_size 24
		.amdhsa_user_sgpr_count 15
		.amdhsa_user_sgpr_dispatch_ptr 0
		.amdhsa_user_sgpr_queue_ptr 0
		.amdhsa_user_sgpr_kernarg_segment_ptr 1
		.amdhsa_user_sgpr_dispatch_id 0
		.amdhsa_user_sgpr_private_segment_size 0
		.amdhsa_wavefront_size32 1
		.amdhsa_uses_dynamic_stack 0
		.amdhsa_enable_private_segment 0
		.amdhsa_system_sgpr_workgroup_id_x 1
		.amdhsa_system_sgpr_workgroup_id_y 0
		.amdhsa_system_sgpr_workgroup_id_z 0
		.amdhsa_system_sgpr_workgroup_info 0
		.amdhsa_system_vgpr_workitem_id 0
		.amdhsa_next_free_vgpr 7
		.amdhsa_next_free_sgpr 16
		.amdhsa_reserve_vcc 1
		.amdhsa_float_round_mode_32 0
		.amdhsa_float_round_mode_16_64 0
		.amdhsa_float_denorm_mode_32 3
		.amdhsa_float_denorm_mode_16_64 3
		.amdhsa_dx10_clamp 1
		.amdhsa_ieee_mode 1
		.amdhsa_fp16_overflow 0
		.amdhsa_workgroup_processor_mode 1
		.amdhsa_memory_ordered 1
		.amdhsa_forward_progress 0
		.amdhsa_shared_vgpr_count 0
		.amdhsa_exception_fp_ieee_invalid_op 0
		.amdhsa_exception_fp_denorm_src 0
		.amdhsa_exception_fp_ieee_div_zero 0
		.amdhsa_exception_fp_ieee_overflow 0
		.amdhsa_exception_fp_ieee_underflow 0
		.amdhsa_exception_fp_ieee_inexact 0
		.amdhsa_exception_int_div_zero 0
	.end_amdhsa_kernel
	.section	.text._Z6kernelI23blocked_to_warp_stripedaLj256ELj2ELj100EEvPKT0_PKjPS1_,"axG",@progbits,_Z6kernelI23blocked_to_warp_stripedaLj256ELj2ELj100EEvPKT0_PKjPS1_,comdat
.Lfunc_end67:
	.size	_Z6kernelI23blocked_to_warp_stripedaLj256ELj2ELj100EEvPKT0_PKjPS1_, .Lfunc_end67-_Z6kernelI23blocked_to_warp_stripedaLj256ELj2ELj100EEvPKT0_PKjPS1_
                                        ; -- End function
	.section	.AMDGPU.csdata,"",@progbits
; Kernel info:
; codeLenInByte = 272
; NumSgprs: 18
; NumVgprs: 7
; ScratchSize: 0
; MemoryBound: 0
; FloatMode: 240
; IeeeMode: 1
; LDSByteSize: 528 bytes/workgroup (compile time only)
; SGPRBlocks: 2
; VGPRBlocks: 0
; NumSGPRsForWavesPerEU: 18
; NumVGPRsForWavesPerEU: 7
; Occupancy: 16
; WaveLimiterHint : 0
; COMPUTE_PGM_RSRC2:SCRATCH_EN: 0
; COMPUTE_PGM_RSRC2:USER_SGPR: 15
; COMPUTE_PGM_RSRC2:TRAP_HANDLER: 0
; COMPUTE_PGM_RSRC2:TGID_X_EN: 1
; COMPUTE_PGM_RSRC2:TGID_Y_EN: 0
; COMPUTE_PGM_RSRC2:TGID_Z_EN: 0
; COMPUTE_PGM_RSRC2:TIDIG_COMP_CNT: 0
	.section	.text._Z6kernelI23blocked_to_warp_stripedaLj256ELj3ELj100EEvPKT0_PKjPS1_,"axG",@progbits,_Z6kernelI23blocked_to_warp_stripedaLj256ELj3ELj100EEvPKT0_PKjPS1_,comdat
	.protected	_Z6kernelI23blocked_to_warp_stripedaLj256ELj3ELj100EEvPKT0_PKjPS1_ ; -- Begin function _Z6kernelI23blocked_to_warp_stripedaLj256ELj3ELj100EEvPKT0_PKjPS1_
	.globl	_Z6kernelI23blocked_to_warp_stripedaLj256ELj3ELj100EEvPKT0_PKjPS1_
	.p2align	8
	.type	_Z6kernelI23blocked_to_warp_stripedaLj256ELj3ELj100EEvPKT0_PKjPS1_,@function
_Z6kernelI23blocked_to_warp_stripedaLj256ELj3ELj100EEvPKT0_PKjPS1_: ; @_Z6kernelI23blocked_to_warp_stripedaLj256ELj3ELj100EEvPKT0_PKjPS1_
; %bb.0:
	s_load_b64 s[4:5], s[0:1], 0x0
	s_mul_i32 s2, s15, 0x300
	v_mul_u32_u24_e32 v1, 3, v0
	v_lshrrev_b32_e32 v4, 5, v0
	s_movk_i32 s3, 0x64
	s_delay_alu instid0(VALU_DEP_1)
	v_mul_u32_u24_e32 v4, 0x60, v4
	s_waitcnt lgkmcnt(0)
	s_add_u32 s4, s4, s2
	s_addc_u32 s5, s5, 0
	s_clause 0x1
	global_load_u16 v2, v1, s[4:5]
	global_load_u8 v3, v1, s[4:5] offset:2
	s_waitcnt vmcnt(1)
	v_lshrrev_b32_e32 v1, 8, v2
	v_and_b32_e32 v2, 0xff, v2
	s_delay_alu instid0(VALU_DEP_2) | instskip(NEXT) | instid1(VALU_DEP_1)
	v_lshlrev_b16 v1, 8, v1
	v_or_b32_e32 v2, v2, v1
	v_mbcnt_lo_u32_b32 v1, -1, 0
	s_delay_alu instid0(VALU_DEP_2) | instskip(NEXT) | instid1(VALU_DEP_2)
	v_and_b32_e32 v5, 0xffff, v2
	v_mul_u32_u24_e32 v6, 3, v1
	v_or_b32_e32 v2, v1, v4
	s_waitcnt vmcnt(0)
	s_delay_alu instid0(VALU_DEP_3) | instskip(NEXT) | instid1(VALU_DEP_3)
	v_lshl_or_b32 v7, v3, 16, v5
	v_add_nc_u32_e32 v3, v6, v4
	.p2align	6
.LBB68_1:                               ; =>This Inner Loop Header: Depth=1
	s_delay_alu instid0(VALU_DEP_1)
	v_lshrrev_b32_e32 v4, 8, v7
	s_add_i32 s3, s3, -1
	ds_store_b8 v3, v7
	ds_store_b8 v3, v4 offset:1
	ds_store_b8_d16_hi v3, v7 offset:2
	; wave barrier
	ds_load_u8 v4, v2 offset:32
	ds_load_u8 v6, v2
	ds_load_u8 v5, v2 offset:64
	s_cmp_lg_u32 s3, 0
	s_waitcnt lgkmcnt(0)
	s_barrier
	buffer_gl0_inv
	v_lshlrev_b16 v7, 8, v4
	v_lshlrev_b32_e32 v8, 16, v5
	s_delay_alu instid0(VALU_DEP_2) | instskip(NEXT) | instid1(VALU_DEP_1)
	v_or_b32_e32 v7, v6, v7
	v_and_b32_e32 v7, 0xffff, v7
	s_delay_alu instid0(VALU_DEP_1)
	v_or_b32_e32 v7, v7, v8
	s_cbranch_scc1 .LBB68_1
; %bb.2:
	s_load_b64 s[0:1], s[0:1], 0x10
	v_and_b32_e32 v0, 0xe0, v0
	s_delay_alu instid0(VALU_DEP_1) | instskip(SKIP_4) | instid1(VALU_DEP_1)
	v_mul_u32_u24_e32 v0, 3, v0
	s_waitcnt lgkmcnt(0)
	s_add_u32 s0, s0, s2
	s_addc_u32 s1, s1, 0
	v_add_co_u32 v1, s0, s0, v1
	v_add_co_ci_u32_e64 v2, null, s1, 0, s0
	s_delay_alu instid0(VALU_DEP_2) | instskip(NEXT) | instid1(VALU_DEP_2)
	v_add_co_u32 v0, vcc_lo, v1, v0
	v_add_co_ci_u32_e32 v1, vcc_lo, 0, v2, vcc_lo
	s_clause 0x2
	global_store_b8 v[0:1], v6, off
	global_store_b8 v[0:1], v4, off offset:32
	global_store_b8 v[0:1], v5, off offset:64
	s_nop 0
	s_sendmsg sendmsg(MSG_DEALLOC_VGPRS)
	s_endpgm
	.section	.rodata,"a",@progbits
	.p2align	6, 0x0
	.amdhsa_kernel _Z6kernelI23blocked_to_warp_stripedaLj256ELj3ELj100EEvPKT0_PKjPS1_
		.amdhsa_group_segment_fixed_size 768
		.amdhsa_private_segment_fixed_size 0
		.amdhsa_kernarg_size 24
		.amdhsa_user_sgpr_count 15
		.amdhsa_user_sgpr_dispatch_ptr 0
		.amdhsa_user_sgpr_queue_ptr 0
		.amdhsa_user_sgpr_kernarg_segment_ptr 1
		.amdhsa_user_sgpr_dispatch_id 0
		.amdhsa_user_sgpr_private_segment_size 0
		.amdhsa_wavefront_size32 1
		.amdhsa_uses_dynamic_stack 0
		.amdhsa_enable_private_segment 0
		.amdhsa_system_sgpr_workgroup_id_x 1
		.amdhsa_system_sgpr_workgroup_id_y 0
		.amdhsa_system_sgpr_workgroup_id_z 0
		.amdhsa_system_sgpr_workgroup_info 0
		.amdhsa_system_vgpr_workitem_id 0
		.amdhsa_next_free_vgpr 9
		.amdhsa_next_free_sgpr 16
		.amdhsa_reserve_vcc 1
		.amdhsa_float_round_mode_32 0
		.amdhsa_float_round_mode_16_64 0
		.amdhsa_float_denorm_mode_32 3
		.amdhsa_float_denorm_mode_16_64 3
		.amdhsa_dx10_clamp 1
		.amdhsa_ieee_mode 1
		.amdhsa_fp16_overflow 0
		.amdhsa_workgroup_processor_mode 1
		.amdhsa_memory_ordered 1
		.amdhsa_forward_progress 0
		.amdhsa_shared_vgpr_count 0
		.amdhsa_exception_fp_ieee_invalid_op 0
		.amdhsa_exception_fp_denorm_src 0
		.amdhsa_exception_fp_ieee_div_zero 0
		.amdhsa_exception_fp_ieee_overflow 0
		.amdhsa_exception_fp_ieee_underflow 0
		.amdhsa_exception_fp_ieee_inexact 0
		.amdhsa_exception_int_div_zero 0
	.end_amdhsa_kernel
	.section	.text._Z6kernelI23blocked_to_warp_stripedaLj256ELj3ELj100EEvPKT0_PKjPS1_,"axG",@progbits,_Z6kernelI23blocked_to_warp_stripedaLj256ELj3ELj100EEvPKT0_PKjPS1_,comdat
.Lfunc_end68:
	.size	_Z6kernelI23blocked_to_warp_stripedaLj256ELj3ELj100EEvPKT0_PKjPS1_, .Lfunc_end68-_Z6kernelI23blocked_to_warp_stripedaLj256ELj3ELj100EEvPKT0_PKjPS1_
                                        ; -- End function
	.section	.AMDGPU.csdata,"",@progbits
; Kernel info:
; codeLenInByte = 380
; NumSgprs: 18
; NumVgprs: 9
; ScratchSize: 0
; MemoryBound: 0
; FloatMode: 240
; IeeeMode: 1
; LDSByteSize: 768 bytes/workgroup (compile time only)
; SGPRBlocks: 2
; VGPRBlocks: 1
; NumSGPRsForWavesPerEU: 18
; NumVGPRsForWavesPerEU: 9
; Occupancy: 16
; WaveLimiterHint : 0
; COMPUTE_PGM_RSRC2:SCRATCH_EN: 0
; COMPUTE_PGM_RSRC2:USER_SGPR: 15
; COMPUTE_PGM_RSRC2:TRAP_HANDLER: 0
; COMPUTE_PGM_RSRC2:TGID_X_EN: 1
; COMPUTE_PGM_RSRC2:TGID_Y_EN: 0
; COMPUTE_PGM_RSRC2:TGID_Z_EN: 0
; COMPUTE_PGM_RSRC2:TIDIG_COMP_CNT: 0
	.section	.text._Z6kernelI23blocked_to_warp_stripedaLj256ELj4ELj100EEvPKT0_PKjPS1_,"axG",@progbits,_Z6kernelI23blocked_to_warp_stripedaLj256ELj4ELj100EEvPKT0_PKjPS1_,comdat
	.protected	_Z6kernelI23blocked_to_warp_stripedaLj256ELj4ELj100EEvPKT0_PKjPS1_ ; -- Begin function _Z6kernelI23blocked_to_warp_stripedaLj256ELj4ELj100EEvPKT0_PKjPS1_
	.globl	_Z6kernelI23blocked_to_warp_stripedaLj256ELj4ELj100EEvPKT0_PKjPS1_
	.p2align	8
	.type	_Z6kernelI23blocked_to_warp_stripedaLj256ELj4ELj100EEvPKT0_PKjPS1_,@function
_Z6kernelI23blocked_to_warp_stripedaLj256ELj4ELj100EEvPKT0_PKjPS1_: ; @_Z6kernelI23blocked_to_warp_stripedaLj256ELj4ELj100EEvPKT0_PKjPS1_
; %bb.0:
	s_load_b64 s[4:5], s[0:1], 0x0
	s_lshl_b32 s2, s15, 10
	v_lshlrev_b32_e32 v2, 2, v0
	v_mbcnt_lo_u32_b32 v1, -1, 0
	v_and_b32_e32 v3, 0xe0, v0
	s_movk_i32 s3, 0x64
	s_delay_alu instid0(VALU_DEP_3) | instskip(NEXT) | instid1(VALU_DEP_2)
	v_and_b32_e32 v0, 0x380, v2
	v_or_b32_e32 v4, v1, v3
	v_lshrrev_b32_e32 v3, 3, v3
	s_delay_alu instid0(VALU_DEP_3) | instskip(NEXT) | instid1(VALU_DEP_3)
	v_lshrrev_b32_e32 v5, 5, v0
	v_lshlrev_b32_e32 v4, 2, v4
	s_delay_alu instid0(VALU_DEP_1)
	v_add_nc_u32_e32 v3, v3, v4
	s_waitcnt lgkmcnt(0)
	s_add_u32 s4, s4, s2
	s_addc_u32 s5, s5, 0
	global_load_b32 v8, v2, s[4:5]
	v_or_b32_e32 v2, v1, v0
	s_delay_alu instid0(VALU_DEP_1)
	v_add_nc_u32_e32 v2, v5, v2
	.p2align	6
.LBB69_1:                               ; =>This Inner Loop Header: Depth=1
	s_waitcnt vmcnt(0)
	ds_store_b32 v3, v8
	; wave barrier
	ds_load_u8 v4, v2 offset:32
	ds_load_u8 v5, v2 offset:96
	ds_load_u8 v7, v2
	ds_load_u8 v6, v2 offset:64
	s_add_i32 s3, s3, -1
	s_waitcnt lgkmcnt(0)
	s_cmp_lg_u32 s3, 0
	s_barrier
	buffer_gl0_inv
	v_lshlrev_b16 v8, 8, v4
	v_lshlrev_b16 v9, 8, v5
	s_delay_alu instid0(VALU_DEP_2) | instskip(NEXT) | instid1(VALU_DEP_2)
	v_or_b32_e32 v8, v7, v8
	v_or_b32_e32 v9, v6, v9
	s_delay_alu instid0(VALU_DEP_2) | instskip(NEXT) | instid1(VALU_DEP_2)
	v_and_b32_e32 v8, 0xffff, v8
	v_lshlrev_b32_e32 v9, 16, v9
	s_delay_alu instid0(VALU_DEP_1)
	v_or_b32_e32 v8, v8, v9
	s_cbranch_scc1 .LBB69_1
; %bb.2:
	s_load_b64 s[0:1], s[0:1], 0x10
	s_waitcnt lgkmcnt(0)
	s_add_u32 s0, s0, s2
	s_addc_u32 s1, s1, 0
	v_add_co_u32 v1, s0, s0, v1
	s_delay_alu instid0(VALU_DEP_1) | instskip(NEXT) | instid1(VALU_DEP_2)
	v_add_co_ci_u32_e64 v2, null, s1, 0, s0
	v_add_co_u32 v0, vcc_lo, v1, v0
	s_delay_alu instid0(VALU_DEP_2)
	v_add_co_ci_u32_e32 v1, vcc_lo, 0, v2, vcc_lo
	s_clause 0x3
	global_store_b8 v[0:1], v7, off
	global_store_b8 v[0:1], v4, off offset:32
	global_store_b8 v[0:1], v6, off offset:64
	;; [unrolled: 1-line block ×3, first 2 shown]
	s_nop 0
	s_sendmsg sendmsg(MSG_DEALLOC_VGPRS)
	s_endpgm
	.section	.rodata,"a",@progbits
	.p2align	6, 0x0
	.amdhsa_kernel _Z6kernelI23blocked_to_warp_stripedaLj256ELj4ELj100EEvPKT0_PKjPS1_
		.amdhsa_group_segment_fixed_size 1056
		.amdhsa_private_segment_fixed_size 0
		.amdhsa_kernarg_size 24
		.amdhsa_user_sgpr_count 15
		.amdhsa_user_sgpr_dispatch_ptr 0
		.amdhsa_user_sgpr_queue_ptr 0
		.amdhsa_user_sgpr_kernarg_segment_ptr 1
		.amdhsa_user_sgpr_dispatch_id 0
		.amdhsa_user_sgpr_private_segment_size 0
		.amdhsa_wavefront_size32 1
		.amdhsa_uses_dynamic_stack 0
		.amdhsa_enable_private_segment 0
		.amdhsa_system_sgpr_workgroup_id_x 1
		.amdhsa_system_sgpr_workgroup_id_y 0
		.amdhsa_system_sgpr_workgroup_id_z 0
		.amdhsa_system_sgpr_workgroup_info 0
		.amdhsa_system_vgpr_workitem_id 0
		.amdhsa_next_free_vgpr 10
		.amdhsa_next_free_sgpr 16
		.amdhsa_reserve_vcc 1
		.amdhsa_float_round_mode_32 0
		.amdhsa_float_round_mode_16_64 0
		.amdhsa_float_denorm_mode_32 3
		.amdhsa_float_denorm_mode_16_64 3
		.amdhsa_dx10_clamp 1
		.amdhsa_ieee_mode 1
		.amdhsa_fp16_overflow 0
		.amdhsa_workgroup_processor_mode 1
		.amdhsa_memory_ordered 1
		.amdhsa_forward_progress 0
		.amdhsa_shared_vgpr_count 0
		.amdhsa_exception_fp_ieee_invalid_op 0
		.amdhsa_exception_fp_denorm_src 0
		.amdhsa_exception_fp_ieee_div_zero 0
		.amdhsa_exception_fp_ieee_overflow 0
		.amdhsa_exception_fp_ieee_underflow 0
		.amdhsa_exception_fp_ieee_inexact 0
		.amdhsa_exception_int_div_zero 0
	.end_amdhsa_kernel
	.section	.text._Z6kernelI23blocked_to_warp_stripedaLj256ELj4ELj100EEvPKT0_PKjPS1_,"axG",@progbits,_Z6kernelI23blocked_to_warp_stripedaLj256ELj4ELj100EEvPKT0_PKjPS1_,comdat
.Lfunc_end69:
	.size	_Z6kernelI23blocked_to_warp_stripedaLj256ELj4ELj100EEvPKT0_PKjPS1_, .Lfunc_end69-_Z6kernelI23blocked_to_warp_stripedaLj256ELj4ELj100EEvPKT0_PKjPS1_
                                        ; -- End function
	.section	.AMDGPU.csdata,"",@progbits
; Kernel info:
; codeLenInByte = 336
; NumSgprs: 18
; NumVgprs: 10
; ScratchSize: 0
; MemoryBound: 0
; FloatMode: 240
; IeeeMode: 1
; LDSByteSize: 1056 bytes/workgroup (compile time only)
; SGPRBlocks: 2
; VGPRBlocks: 1
; NumSGPRsForWavesPerEU: 18
; NumVGPRsForWavesPerEU: 10
; Occupancy: 16
; WaveLimiterHint : 0
; COMPUTE_PGM_RSRC2:SCRATCH_EN: 0
; COMPUTE_PGM_RSRC2:USER_SGPR: 15
; COMPUTE_PGM_RSRC2:TRAP_HANDLER: 0
; COMPUTE_PGM_RSRC2:TGID_X_EN: 1
; COMPUTE_PGM_RSRC2:TGID_Y_EN: 0
; COMPUTE_PGM_RSRC2:TGID_Z_EN: 0
; COMPUTE_PGM_RSRC2:TIDIG_COMP_CNT: 0
	.section	.text._Z6kernelI23blocked_to_warp_stripedaLj256ELj7ELj100EEvPKT0_PKjPS1_,"axG",@progbits,_Z6kernelI23blocked_to_warp_stripedaLj256ELj7ELj100EEvPKT0_PKjPS1_,comdat
	.protected	_Z6kernelI23blocked_to_warp_stripedaLj256ELj7ELj100EEvPKT0_PKjPS1_ ; -- Begin function _Z6kernelI23blocked_to_warp_stripedaLj256ELj7ELj100EEvPKT0_PKjPS1_
	.globl	_Z6kernelI23blocked_to_warp_stripedaLj256ELj7ELj100EEvPKT0_PKjPS1_
	.p2align	8
	.type	_Z6kernelI23blocked_to_warp_stripedaLj256ELj7ELj100EEvPKT0_PKjPS1_,@function
_Z6kernelI23blocked_to_warp_stripedaLj256ELj7ELj100EEvPKT0_PKjPS1_: ; @_Z6kernelI23blocked_to_warp_stripedaLj256ELj7ELj100EEvPKT0_PKjPS1_
; %bb.0:
	s_load_b64 s[4:5], s[0:1], 0x0
	s_mul_i32 s2, s15, 0x700
	v_mul_u32_u24_e32 v1, 7, v0
	v_lshrrev_b32_e32 v5, 5, v0
	v_mbcnt_lo_u32_b32 v3, -1, 0
	s_movk_i32 s3, 0x64
	s_delay_alu instid0(VALU_DEP_2) | instskip(NEXT) | instid1(VALU_DEP_2)
	v_mul_u32_u24_e32 v6, 0xe0, v5
	v_mul_u32_u24_e32 v8, 7, v3
	s_delay_alu instid0(VALU_DEP_2) | instskip(NEXT) | instid1(VALU_DEP_2)
	v_or_b32_e32 v5, v3, v6
	v_add_nc_u32_e32 v6, v8, v6
	s_waitcnt lgkmcnt(0)
	s_add_u32 s4, s4, s2
	s_addc_u32 s5, s5, 0
	s_clause 0x2
	global_load_u16 v2, v1, s[4:5] offset:4
	global_load_b32 v4, v1, s[4:5]
	global_load_i8 v1, v1, s[4:5] offset:6
	s_waitcnt vmcnt(2)
	v_and_b32_e32 v7, 0xffff, v2
	s_waitcnt vmcnt(1)
	v_perm_b32 v11, v4, v4, 0x3020104
	s_delay_alu instid0(VALU_DEP_2)
	v_lshrrev_b32_e32 v4, 8, v7
	s_set_inst_prefetch_distance 0x1
	.p2align	6
.LBB70_1:                               ; =>This Inner Loop Header: Depth=1
	s_delay_alu instid0(VALU_DEP_1)
	v_lshrrev_b32_e32 v7, 8, v11
	v_lshrrev_b32_e32 v8, 24, v11
	s_add_i32 s3, s3, -1
	ds_store_b8 v6, v11
	ds_store_b8 v6, v7 offset:1
	ds_store_b8_d16_hi v6, v11 offset:2
	ds_store_b8 v6, v8 offset:3
	ds_store_b8 v6, v2 offset:4
	;; [unrolled: 1-line block ×3, first 2 shown]
	s_waitcnt vmcnt(0)
	ds_store_b8 v6, v1 offset:6
	; wave barrier
	ds_load_u8 v7, v5 offset:32
	ds_load_u8 v8, v5 offset:96
	ds_load_u8 v10, v5
	ds_load_u8 v9, v5 offset:64
	ds_load_u8 v2, v5 offset:128
	;; [unrolled: 1-line block ×4, first 2 shown]
	s_cmp_lg_u32 s3, 0
	s_waitcnt lgkmcnt(0)
	s_barrier
	buffer_gl0_inv
	v_lshlrev_b16 v11, 8, v7
	v_lshlrev_b16 v12, 8, v8
	s_delay_alu instid0(VALU_DEP_2) | instskip(NEXT) | instid1(VALU_DEP_2)
	v_or_b32_e32 v11, v10, v11
	v_or_b32_e32 v12, v9, v12
	s_delay_alu instid0(VALU_DEP_2) | instskip(NEXT) | instid1(VALU_DEP_2)
	v_and_b32_e32 v11, 0xffff, v11
	v_lshlrev_b32_e32 v12, 16, v12
	s_delay_alu instid0(VALU_DEP_1)
	v_or_b32_e32 v11, v11, v12
	s_cbranch_scc1 .LBB70_1
; %bb.2:
	s_set_inst_prefetch_distance 0x2
	s_load_b64 s[0:1], s[0:1], 0x10
	v_and_b32_e32 v0, 0xe0, v0
	s_delay_alu instid0(VALU_DEP_1) | instskip(SKIP_4) | instid1(VALU_DEP_1)
	v_mul_u32_u24_e32 v0, 7, v0
	s_waitcnt lgkmcnt(0)
	s_add_u32 s0, s0, s2
	s_addc_u32 s1, s1, 0
	v_add_co_u32 v3, s0, s0, v3
	v_add_co_ci_u32_e64 v6, null, s1, 0, s0
	s_delay_alu instid0(VALU_DEP_2) | instskip(NEXT) | instid1(VALU_DEP_2)
	v_add_co_u32 v5, vcc_lo, v3, v0
	v_add_co_ci_u32_e32 v6, vcc_lo, 0, v6, vcc_lo
	s_clause 0x6
	global_store_b8 v[5:6], v10, off
	global_store_b8 v[5:6], v7, off offset:32
	global_store_b8 v[5:6], v9, off offset:64
	;; [unrolled: 1-line block ×6, first 2 shown]
	s_nop 0
	s_sendmsg sendmsg(MSG_DEALLOC_VGPRS)
	s_endpgm
	.section	.rodata,"a",@progbits
	.p2align	6, 0x0
	.amdhsa_kernel _Z6kernelI23blocked_to_warp_stripedaLj256ELj7ELj100EEvPKT0_PKjPS1_
		.amdhsa_group_segment_fixed_size 1792
		.amdhsa_private_segment_fixed_size 0
		.amdhsa_kernarg_size 24
		.amdhsa_user_sgpr_count 15
		.amdhsa_user_sgpr_dispatch_ptr 0
		.amdhsa_user_sgpr_queue_ptr 0
		.amdhsa_user_sgpr_kernarg_segment_ptr 1
		.amdhsa_user_sgpr_dispatch_id 0
		.amdhsa_user_sgpr_private_segment_size 0
		.amdhsa_wavefront_size32 1
		.amdhsa_uses_dynamic_stack 0
		.amdhsa_enable_private_segment 0
		.amdhsa_system_sgpr_workgroup_id_x 1
		.amdhsa_system_sgpr_workgroup_id_y 0
		.amdhsa_system_sgpr_workgroup_id_z 0
		.amdhsa_system_sgpr_workgroup_info 0
		.amdhsa_system_vgpr_workitem_id 0
		.amdhsa_next_free_vgpr 13
		.amdhsa_next_free_sgpr 16
		.amdhsa_reserve_vcc 1
		.amdhsa_float_round_mode_32 0
		.amdhsa_float_round_mode_16_64 0
		.amdhsa_float_denorm_mode_32 3
		.amdhsa_float_denorm_mode_16_64 3
		.amdhsa_dx10_clamp 1
		.amdhsa_ieee_mode 1
		.amdhsa_fp16_overflow 0
		.amdhsa_workgroup_processor_mode 1
		.amdhsa_memory_ordered 1
		.amdhsa_forward_progress 0
		.amdhsa_shared_vgpr_count 0
		.amdhsa_exception_fp_ieee_invalid_op 0
		.amdhsa_exception_fp_denorm_src 0
		.amdhsa_exception_fp_ieee_div_zero 0
		.amdhsa_exception_fp_ieee_overflow 0
		.amdhsa_exception_fp_ieee_underflow 0
		.amdhsa_exception_fp_ieee_inexact 0
		.amdhsa_exception_int_div_zero 0
	.end_amdhsa_kernel
	.section	.text._Z6kernelI23blocked_to_warp_stripedaLj256ELj7ELj100EEvPKT0_PKjPS1_,"axG",@progbits,_Z6kernelI23blocked_to_warp_stripedaLj256ELj7ELj100EEvPKT0_PKjPS1_,comdat
.Lfunc_end70:
	.size	_Z6kernelI23blocked_to_warp_stripedaLj256ELj7ELj100EEvPKT0_PKjPS1_, .Lfunc_end70-_Z6kernelI23blocked_to_warp_stripedaLj256ELj7ELj100EEvPKT0_PKjPS1_
                                        ; -- End function
	.section	.AMDGPU.csdata,"",@progbits
; Kernel info:
; codeLenInByte = 496
; NumSgprs: 18
; NumVgprs: 13
; ScratchSize: 0
; MemoryBound: 0
; FloatMode: 240
; IeeeMode: 1
; LDSByteSize: 1792 bytes/workgroup (compile time only)
; SGPRBlocks: 2
; VGPRBlocks: 1
; NumSGPRsForWavesPerEU: 18
; NumVGPRsForWavesPerEU: 13
; Occupancy: 16
; WaveLimiterHint : 0
; COMPUTE_PGM_RSRC2:SCRATCH_EN: 0
; COMPUTE_PGM_RSRC2:USER_SGPR: 15
; COMPUTE_PGM_RSRC2:TRAP_HANDLER: 0
; COMPUTE_PGM_RSRC2:TGID_X_EN: 1
; COMPUTE_PGM_RSRC2:TGID_Y_EN: 0
; COMPUTE_PGM_RSRC2:TGID_Z_EN: 0
; COMPUTE_PGM_RSRC2:TIDIG_COMP_CNT: 0
	.section	.text._Z6kernelI23blocked_to_warp_stripedaLj256ELj8ELj100EEvPKT0_PKjPS1_,"axG",@progbits,_Z6kernelI23blocked_to_warp_stripedaLj256ELj8ELj100EEvPKT0_PKjPS1_,comdat
	.protected	_Z6kernelI23blocked_to_warp_stripedaLj256ELj8ELj100EEvPKT0_PKjPS1_ ; -- Begin function _Z6kernelI23blocked_to_warp_stripedaLj256ELj8ELj100EEvPKT0_PKjPS1_
	.globl	_Z6kernelI23blocked_to_warp_stripedaLj256ELj8ELj100EEvPKT0_PKjPS1_
	.p2align	8
	.type	_Z6kernelI23blocked_to_warp_stripedaLj256ELj8ELj100EEvPKT0_PKjPS1_,@function
_Z6kernelI23blocked_to_warp_stripedaLj256ELj8ELj100EEvPKT0_PKjPS1_: ; @_Z6kernelI23blocked_to_warp_stripedaLj256ELj8ELj100EEvPKT0_PKjPS1_
; %bb.0:
	s_load_b64 s[4:5], s[0:1], 0x0
	s_lshl_b32 s2, s15, 11
	v_lshlrev_b32_e32 v4, 3, v0
	v_mbcnt_lo_u32_b32 v3, -1, 0
	s_movk_i32 s3, 0x64
	s_delay_alu instid0(VALU_DEP_1) | instskip(NEXT) | instid1(VALU_DEP_1)
	v_and_or_b32 v0, 0xe0, v0, v3
	v_lshrrev_b32_e32 v6, 2, v0
	v_lshlrev_b32_e32 v7, 3, v0
	s_delay_alu instid0(VALU_DEP_2) | instskip(SKIP_3) | instid1(VALU_DEP_1)
	v_and_b32_e32 v6, 60, v6
	s_waitcnt lgkmcnt(0)
	s_add_u32 s4, s4, s2
	s_addc_u32 s5, s5, 0
	v_add_nc_u32_e32 v6, v6, v7
	global_load_b64 v[1:2], v4, s[4:5]
	v_and_b32_e32 v4, 0x700, v4
	s_delay_alu instid0(VALU_DEP_1) | instskip(SKIP_2) | instid1(VALU_DEP_3)
	v_or_b32_e32 v5, 0x80, v4
	v_or_b32_e32 v8, v3, v4
	v_lshrrev_b32_e32 v0, 5, v4
	v_lshrrev_b32_e32 v5, 5, v5
	s_delay_alu instid0(VALU_DEP_2) | instskip(NEXT) | instid1(VALU_DEP_2)
	v_add_nc_u32_e32 v0, v0, v8
	v_add_nc_u32_e32 v5, v5, v8
	s_set_inst_prefetch_distance 0x1
	.p2align	6
.LBB71_1:                               ; =>This Inner Loop Header: Depth=1
	s_waitcnt vmcnt(0)
	ds_store_2addr_b32 v6, v1, v2 offset1:1
	; wave barrier
	ds_load_u8 v7, v0 offset:32
	ds_load_u8 v8, v0 offset:96
	;; [unrolled: 1-line block ×4, first 2 shown]
	ds_load_u8 v14, v0
	ds_load_u8 v13, v0 offset:64
	ds_load_u8 v12, v5 offset:128
	;; [unrolled: 1-line block ×3, first 2 shown]
	s_add_i32 s3, s3, -1
	s_waitcnt lgkmcnt(0)
	s_cmp_lg_u32 s3, 0
	s_barrier
	buffer_gl0_inv
	v_lshlrev_b16 v1, 8, v7
	v_lshlrev_b16 v2, 8, v8
	v_lshlrev_b16 v15, 8, v9
	v_lshlrev_b16 v16, 8, v10
	s_delay_alu instid0(VALU_DEP_4) | instskip(NEXT) | instid1(VALU_DEP_4)
	v_or_b32_e32 v1, v14, v1
	v_or_b32_e32 v2, v13, v2
	s_delay_alu instid0(VALU_DEP_4) | instskip(NEXT) | instid1(VALU_DEP_4)
	v_or_b32_e32 v15, v12, v15
	v_or_b32_e32 v16, v11, v16
	s_delay_alu instid0(VALU_DEP_4) | instskip(NEXT) | instid1(VALU_DEP_4)
	v_and_b32_e32 v1, 0xffff, v1
	v_lshlrev_b32_e32 v2, 16, v2
	s_delay_alu instid0(VALU_DEP_4) | instskip(NEXT) | instid1(VALU_DEP_4)
	v_and_b32_e32 v15, 0xffff, v15
	v_lshlrev_b32_e32 v16, 16, v16
	s_delay_alu instid0(VALU_DEP_3) | instskip(NEXT) | instid1(VALU_DEP_2)
	v_or_b32_e32 v1, v1, v2
	v_or_b32_e32 v2, v15, v16
	s_cbranch_scc1 .LBB71_1
; %bb.2:
	s_set_inst_prefetch_distance 0x2
	s_load_b64 s[0:1], s[0:1], 0x10
	s_waitcnt lgkmcnt(0)
	s_add_u32 s0, s0, s2
	s_addc_u32 s1, s1, 0
	v_add_co_u32 v0, s0, s0, v3
	s_delay_alu instid0(VALU_DEP_1) | instskip(NEXT) | instid1(VALU_DEP_2)
	v_add_co_ci_u32_e64 v1, null, s1, 0, s0
	v_add_co_u32 v0, vcc_lo, v0, v4
	s_delay_alu instid0(VALU_DEP_2)
	v_add_co_ci_u32_e32 v1, vcc_lo, 0, v1, vcc_lo
	s_clause 0x7
	global_store_b8 v[0:1], v14, off
	global_store_b8 v[0:1], v7, off offset:32
	global_store_b8 v[0:1], v13, off offset:64
	;; [unrolled: 1-line block ×7, first 2 shown]
	s_nop 0
	s_sendmsg sendmsg(MSG_DEALLOC_VGPRS)
	s_endpgm
	.section	.rodata,"a",@progbits
	.p2align	6, 0x0
	.amdhsa_kernel _Z6kernelI23blocked_to_warp_stripedaLj256ELj8ELj100EEvPKT0_PKjPS1_
		.amdhsa_group_segment_fixed_size 2112
		.amdhsa_private_segment_fixed_size 0
		.amdhsa_kernarg_size 24
		.amdhsa_user_sgpr_count 15
		.amdhsa_user_sgpr_dispatch_ptr 0
		.amdhsa_user_sgpr_queue_ptr 0
		.amdhsa_user_sgpr_kernarg_segment_ptr 1
		.amdhsa_user_sgpr_dispatch_id 0
		.amdhsa_user_sgpr_private_segment_size 0
		.amdhsa_wavefront_size32 1
		.amdhsa_uses_dynamic_stack 0
		.amdhsa_enable_private_segment 0
		.amdhsa_system_sgpr_workgroup_id_x 1
		.amdhsa_system_sgpr_workgroup_id_y 0
		.amdhsa_system_sgpr_workgroup_id_z 0
		.amdhsa_system_sgpr_workgroup_info 0
		.amdhsa_system_vgpr_workitem_id 0
		.amdhsa_next_free_vgpr 17
		.amdhsa_next_free_sgpr 16
		.amdhsa_reserve_vcc 1
		.amdhsa_float_round_mode_32 0
		.amdhsa_float_round_mode_16_64 0
		.amdhsa_float_denorm_mode_32 3
		.amdhsa_float_denorm_mode_16_64 3
		.amdhsa_dx10_clamp 1
		.amdhsa_ieee_mode 1
		.amdhsa_fp16_overflow 0
		.amdhsa_workgroup_processor_mode 1
		.amdhsa_memory_ordered 1
		.amdhsa_forward_progress 0
		.amdhsa_shared_vgpr_count 0
		.amdhsa_exception_fp_ieee_invalid_op 0
		.amdhsa_exception_fp_denorm_src 0
		.amdhsa_exception_fp_ieee_div_zero 0
		.amdhsa_exception_fp_ieee_overflow 0
		.amdhsa_exception_fp_ieee_underflow 0
		.amdhsa_exception_fp_ieee_inexact 0
		.amdhsa_exception_int_div_zero 0
	.end_amdhsa_kernel
	.section	.text._Z6kernelI23blocked_to_warp_stripedaLj256ELj8ELj100EEvPKT0_PKjPS1_,"axG",@progbits,_Z6kernelI23blocked_to_warp_stripedaLj256ELj8ELj100EEvPKT0_PKjPS1_,comdat
.Lfunc_end71:
	.size	_Z6kernelI23blocked_to_warp_stripedaLj256ELj8ELj100EEvPKT0_PKjPS1_, .Lfunc_end71-_Z6kernelI23blocked_to_warp_stripedaLj256ELj8ELj100EEvPKT0_PKjPS1_
                                        ; -- End function
	.section	.AMDGPU.csdata,"",@progbits
; Kernel info:
; codeLenInByte = 476
; NumSgprs: 18
; NumVgprs: 17
; ScratchSize: 0
; MemoryBound: 0
; FloatMode: 240
; IeeeMode: 1
; LDSByteSize: 2112 bytes/workgroup (compile time only)
; SGPRBlocks: 2
; VGPRBlocks: 2
; NumSGPRsForWavesPerEU: 18
; NumVGPRsForWavesPerEU: 17
; Occupancy: 16
; WaveLimiterHint : 0
; COMPUTE_PGM_RSRC2:SCRATCH_EN: 0
; COMPUTE_PGM_RSRC2:USER_SGPR: 15
; COMPUTE_PGM_RSRC2:TRAP_HANDLER: 0
; COMPUTE_PGM_RSRC2:TGID_X_EN: 1
; COMPUTE_PGM_RSRC2:TGID_Y_EN: 0
; COMPUTE_PGM_RSRC2:TGID_Z_EN: 0
; COMPUTE_PGM_RSRC2:TIDIG_COMP_CNT: 0
	.section	.text._Z6kernelI23blocked_to_warp_stripedxLj256ELj1ELj100EEvPKT0_PKjPS1_,"axG",@progbits,_Z6kernelI23blocked_to_warp_stripedxLj256ELj1ELj100EEvPKT0_PKjPS1_,comdat
	.protected	_Z6kernelI23blocked_to_warp_stripedxLj256ELj1ELj100EEvPKT0_PKjPS1_ ; -- Begin function _Z6kernelI23blocked_to_warp_stripedxLj256ELj1ELj100EEvPKT0_PKjPS1_
	.globl	_Z6kernelI23blocked_to_warp_stripedxLj256ELj1ELj100EEvPKT0_PKjPS1_
	.p2align	8
	.type	_Z6kernelI23blocked_to_warp_stripedxLj256ELj1ELj100EEvPKT0_PKjPS1_,@function
_Z6kernelI23blocked_to_warp_stripedxLj256ELj1ELj100EEvPKT0_PKjPS1_: ; @_Z6kernelI23blocked_to_warp_stripedxLj256ELj1ELj100EEvPKT0_PKjPS1_
; %bb.0:
	s_load_b64 s[4:5], s[0:1], 0x0
	s_lshl_b32 s2, s15, 8
	s_mov_b32 s3, 0
	v_lshlrev_b32_e32 v1, 3, v0
	s_lshl_b64 s[2:3], s[2:3], 3
	v_mbcnt_lo_u32_b32 v3, -1, 0
	v_and_b32_e32 v0, 0xe0, v0
	s_delay_alu instid0(VALU_DEP_1) | instskip(NEXT) | instid1(VALU_DEP_1)
	v_or_b32_e32 v4, v3, v0
	v_lshlrev_b32_e32 v4, 3, v4
	s_waitcnt lgkmcnt(0)
	s_add_u32 s4, s4, s2
	s_addc_u32 s5, s5, s3
	global_load_b64 v[1:2], v1, s[4:5]
	s_movk_i32 s4, 0x64
.LBB72_1:                               ; =>This Inner Loop Header: Depth=1
	s_waitcnt vmcnt(0)
	ds_store_b64 v4, v[1:2]
	; wave barrier
	ds_load_b64 v[1:2], v4
	s_add_i32 s4, s4, -1
	s_waitcnt lgkmcnt(0)
	s_cmp_lg_u32 s4, 0
	s_barrier
	buffer_gl0_inv
	s_cbranch_scc1 .LBB72_1
; %bb.2:
	s_load_b64 s[0:1], s[0:1], 0x10
	v_lshlrev_b32_e32 v3, 3, v3
	v_lshlrev_b32_e32 v0, 3, v0
	s_waitcnt lgkmcnt(0)
	s_add_u32 s0, s0, s2
	s_addc_u32 s1, s1, s3
	v_add_co_u32 v3, s0, s0, v3
	s_delay_alu instid0(VALU_DEP_1) | instskip(NEXT) | instid1(VALU_DEP_2)
	v_add_co_ci_u32_e64 v4, null, s1, 0, s0
	v_add_co_u32 v3, vcc_lo, v3, v0
	s_delay_alu instid0(VALU_DEP_2)
	v_add_co_ci_u32_e32 v4, vcc_lo, 0, v4, vcc_lo
	global_store_b64 v[3:4], v[1:2], off
	s_nop 0
	s_sendmsg sendmsg(MSG_DEALLOC_VGPRS)
	s_endpgm
	.section	.rodata,"a",@progbits
	.p2align	6, 0x0
	.amdhsa_kernel _Z6kernelI23blocked_to_warp_stripedxLj256ELj1ELj100EEvPKT0_PKjPS1_
		.amdhsa_group_segment_fixed_size 2048
		.amdhsa_private_segment_fixed_size 0
		.amdhsa_kernarg_size 24
		.amdhsa_user_sgpr_count 15
		.amdhsa_user_sgpr_dispatch_ptr 0
		.amdhsa_user_sgpr_queue_ptr 0
		.amdhsa_user_sgpr_kernarg_segment_ptr 1
		.amdhsa_user_sgpr_dispatch_id 0
		.amdhsa_user_sgpr_private_segment_size 0
		.amdhsa_wavefront_size32 1
		.amdhsa_uses_dynamic_stack 0
		.amdhsa_enable_private_segment 0
		.amdhsa_system_sgpr_workgroup_id_x 1
		.amdhsa_system_sgpr_workgroup_id_y 0
		.amdhsa_system_sgpr_workgroup_id_z 0
		.amdhsa_system_sgpr_workgroup_info 0
		.amdhsa_system_vgpr_workitem_id 0
		.amdhsa_next_free_vgpr 5
		.amdhsa_next_free_sgpr 16
		.amdhsa_reserve_vcc 1
		.amdhsa_float_round_mode_32 0
		.amdhsa_float_round_mode_16_64 0
		.amdhsa_float_denorm_mode_32 3
		.amdhsa_float_denorm_mode_16_64 3
		.amdhsa_dx10_clamp 1
		.amdhsa_ieee_mode 1
		.amdhsa_fp16_overflow 0
		.amdhsa_workgroup_processor_mode 1
		.amdhsa_memory_ordered 1
		.amdhsa_forward_progress 0
		.amdhsa_shared_vgpr_count 0
		.amdhsa_exception_fp_ieee_invalid_op 0
		.amdhsa_exception_fp_denorm_src 0
		.amdhsa_exception_fp_ieee_div_zero 0
		.amdhsa_exception_fp_ieee_overflow 0
		.amdhsa_exception_fp_ieee_underflow 0
		.amdhsa_exception_fp_ieee_inexact 0
		.amdhsa_exception_int_div_zero 0
	.end_amdhsa_kernel
	.section	.text._Z6kernelI23blocked_to_warp_stripedxLj256ELj1ELj100EEvPKT0_PKjPS1_,"axG",@progbits,_Z6kernelI23blocked_to_warp_stripedxLj256ELj1ELj100EEvPKT0_PKjPS1_,comdat
.Lfunc_end72:
	.size	_Z6kernelI23blocked_to_warp_stripedxLj256ELj1ELj100EEvPKT0_PKjPS1_, .Lfunc_end72-_Z6kernelI23blocked_to_warp_stripedxLj256ELj1ELj100EEvPKT0_PKjPS1_
                                        ; -- End function
	.section	.AMDGPU.csdata,"",@progbits
; Kernel info:
; codeLenInByte = 208
; NumSgprs: 18
; NumVgprs: 5
; ScratchSize: 0
; MemoryBound: 0
; FloatMode: 240
; IeeeMode: 1
; LDSByteSize: 2048 bytes/workgroup (compile time only)
; SGPRBlocks: 2
; VGPRBlocks: 0
; NumSGPRsForWavesPerEU: 18
; NumVGPRsForWavesPerEU: 5
; Occupancy: 16
; WaveLimiterHint : 0
; COMPUTE_PGM_RSRC2:SCRATCH_EN: 0
; COMPUTE_PGM_RSRC2:USER_SGPR: 15
; COMPUTE_PGM_RSRC2:TRAP_HANDLER: 0
; COMPUTE_PGM_RSRC2:TGID_X_EN: 1
; COMPUTE_PGM_RSRC2:TGID_Y_EN: 0
; COMPUTE_PGM_RSRC2:TGID_Z_EN: 0
; COMPUTE_PGM_RSRC2:TIDIG_COMP_CNT: 0
	.section	.text._Z6kernelI23blocked_to_warp_stripedxLj256ELj2ELj100EEvPKT0_PKjPS1_,"axG",@progbits,_Z6kernelI23blocked_to_warp_stripedxLj256ELj2ELj100EEvPKT0_PKjPS1_,comdat
	.protected	_Z6kernelI23blocked_to_warp_stripedxLj256ELj2ELj100EEvPKT0_PKjPS1_ ; -- Begin function _Z6kernelI23blocked_to_warp_stripedxLj256ELj2ELj100EEvPKT0_PKjPS1_
	.globl	_Z6kernelI23blocked_to_warp_stripedxLj256ELj2ELj100EEvPKT0_PKjPS1_
	.p2align	8
	.type	_Z6kernelI23blocked_to_warp_stripedxLj256ELj2ELj100EEvPKT0_PKjPS1_,@function
_Z6kernelI23blocked_to_warp_stripedxLj256ELj2ELj100EEvPKT0_PKjPS1_: ; @_Z6kernelI23blocked_to_warp_stripedxLj256ELj2ELj100EEvPKT0_PKjPS1_
; %bb.0:
	s_load_b64 s[4:5], s[0:1], 0x0
	s_lshl_b32 s2, s15, 9
	s_mov_b32 s3, 0
	v_lshlrev_b32_e32 v1, 4, v0
	s_lshl_b64 s[2:3], s[2:3], 3
	v_mbcnt_lo_u32_b32 v5, -1, 0
	v_lshlrev_b32_e32 v6, 1, v0
	s_delay_alu instid0(VALU_DEP_2) | instskip(NEXT) | instid1(VALU_DEP_2)
	v_and_or_b32 v7, 0xe0, v0, v5
	v_and_b32_e32 v0, 0x1c0, v6
	s_delay_alu instid0(VALU_DEP_2) | instskip(NEXT) | instid1(VALU_DEP_2)
	v_lshrrev_b16 v6, 1, v7
	v_or_b32_e32 v8, 32, v0
	v_or_b32_e32 v9, v5, v0
	v_lshrrev_b32_e32 v10, 5, v0
	s_delay_alu instid0(VALU_DEP_4)
	v_and_b32_e32 v6, 0x78, v6
	s_waitcnt lgkmcnt(0)
	s_add_u32 s4, s4, s2
	s_addc_u32 s5, s5, s3
	v_lshrrev_b32_e32 v8, 5, v8
	global_load_b128 v[1:4], v1, s[4:5]
	v_lshl_add_u32 v6, v7, 4, v6
	v_add_lshl_u32 v7, v10, v9, 3
	s_movk_i32 s4, 0x64
	v_add_lshl_u32 v8, v8, v9, 3
.LBB73_1:                               ; =>This Inner Loop Header: Depth=1
	s_waitcnt vmcnt(0)
	ds_store_2addr_b64 v6, v[1:2], v[3:4] offset1:1
	; wave barrier
	ds_load_b64 v[1:2], v7
	ds_load_b64 v[3:4], v8 offset:256
	s_add_i32 s4, s4, -1
	s_waitcnt lgkmcnt(0)
	s_cmp_lg_u32 s4, 0
	s_barrier
	buffer_gl0_inv
	s_cbranch_scc1 .LBB73_1
; %bb.2:
	s_load_b64 s[0:1], s[0:1], 0x10
	v_lshlrev_b32_e32 v5, 3, v5
	v_lshlrev_b32_e32 v0, 3, v0
	s_waitcnt lgkmcnt(0)
	s_add_u32 s0, s0, s2
	s_addc_u32 s1, s1, s3
	v_add_co_u32 v5, s0, s0, v5
	s_delay_alu instid0(VALU_DEP_1) | instskip(NEXT) | instid1(VALU_DEP_2)
	v_add_co_ci_u32_e64 v6, null, s1, 0, s0
	v_add_co_u32 v5, vcc_lo, v5, v0
	s_delay_alu instid0(VALU_DEP_2)
	v_add_co_ci_u32_e32 v6, vcc_lo, 0, v6, vcc_lo
	s_clause 0x1
	global_store_b64 v[5:6], v[1:2], off
	global_store_b64 v[5:6], v[3:4], off offset:256
	s_nop 0
	s_sendmsg sendmsg(MSG_DEALLOC_VGPRS)
	s_endpgm
	.section	.rodata,"a",@progbits
	.p2align	6, 0x0
	.amdhsa_kernel _Z6kernelI23blocked_to_warp_stripedxLj256ELj2ELj100EEvPKT0_PKjPS1_
		.amdhsa_group_segment_fixed_size 4224
		.amdhsa_private_segment_fixed_size 0
		.amdhsa_kernarg_size 24
		.amdhsa_user_sgpr_count 15
		.amdhsa_user_sgpr_dispatch_ptr 0
		.amdhsa_user_sgpr_queue_ptr 0
		.amdhsa_user_sgpr_kernarg_segment_ptr 1
		.amdhsa_user_sgpr_dispatch_id 0
		.amdhsa_user_sgpr_private_segment_size 0
		.amdhsa_wavefront_size32 1
		.amdhsa_uses_dynamic_stack 0
		.amdhsa_enable_private_segment 0
		.amdhsa_system_sgpr_workgroup_id_x 1
		.amdhsa_system_sgpr_workgroup_id_y 0
		.amdhsa_system_sgpr_workgroup_id_z 0
		.amdhsa_system_sgpr_workgroup_info 0
		.amdhsa_system_vgpr_workitem_id 0
		.amdhsa_next_free_vgpr 11
		.amdhsa_next_free_sgpr 16
		.amdhsa_reserve_vcc 1
		.amdhsa_float_round_mode_32 0
		.amdhsa_float_round_mode_16_64 0
		.amdhsa_float_denorm_mode_32 3
		.amdhsa_float_denorm_mode_16_64 3
		.amdhsa_dx10_clamp 1
		.amdhsa_ieee_mode 1
		.amdhsa_fp16_overflow 0
		.amdhsa_workgroup_processor_mode 1
		.amdhsa_memory_ordered 1
		.amdhsa_forward_progress 0
		.amdhsa_shared_vgpr_count 0
		.amdhsa_exception_fp_ieee_invalid_op 0
		.amdhsa_exception_fp_denorm_src 0
		.amdhsa_exception_fp_ieee_div_zero 0
		.amdhsa_exception_fp_ieee_overflow 0
		.amdhsa_exception_fp_ieee_underflow 0
		.amdhsa_exception_fp_ieee_inexact 0
		.amdhsa_exception_int_div_zero 0
	.end_amdhsa_kernel
	.section	.text._Z6kernelI23blocked_to_warp_stripedxLj256ELj2ELj100EEvPKT0_PKjPS1_,"axG",@progbits,_Z6kernelI23blocked_to_warp_stripedxLj256ELj2ELj100EEvPKT0_PKjPS1_,comdat
.Lfunc_end73:
	.size	_Z6kernelI23blocked_to_warp_stripedxLj256ELj2ELj100EEvPKT0_PKjPS1_, .Lfunc_end73-_Z6kernelI23blocked_to_warp_stripedxLj256ELj2ELj100EEvPKT0_PKjPS1_
                                        ; -- End function
	.section	.AMDGPU.csdata,"",@progbits
; Kernel info:
; codeLenInByte = 300
; NumSgprs: 18
; NumVgprs: 11
; ScratchSize: 0
; MemoryBound: 0
; FloatMode: 240
; IeeeMode: 1
; LDSByteSize: 4224 bytes/workgroup (compile time only)
; SGPRBlocks: 2
; VGPRBlocks: 1
; NumSGPRsForWavesPerEU: 18
; NumVGPRsForWavesPerEU: 11
; Occupancy: 16
; WaveLimiterHint : 1
; COMPUTE_PGM_RSRC2:SCRATCH_EN: 0
; COMPUTE_PGM_RSRC2:USER_SGPR: 15
; COMPUTE_PGM_RSRC2:TRAP_HANDLER: 0
; COMPUTE_PGM_RSRC2:TGID_X_EN: 1
; COMPUTE_PGM_RSRC2:TGID_Y_EN: 0
; COMPUTE_PGM_RSRC2:TGID_Z_EN: 0
; COMPUTE_PGM_RSRC2:TIDIG_COMP_CNT: 0
	.section	.text._Z6kernelI23blocked_to_warp_stripedxLj256ELj3ELj100EEvPKT0_PKjPS1_,"axG",@progbits,_Z6kernelI23blocked_to_warp_stripedxLj256ELj3ELj100EEvPKT0_PKjPS1_,comdat
	.protected	_Z6kernelI23blocked_to_warp_stripedxLj256ELj3ELj100EEvPKT0_PKjPS1_ ; -- Begin function _Z6kernelI23blocked_to_warp_stripedxLj256ELj3ELj100EEvPKT0_PKjPS1_
	.globl	_Z6kernelI23blocked_to_warp_stripedxLj256ELj3ELj100EEvPKT0_PKjPS1_
	.p2align	8
	.type	_Z6kernelI23blocked_to_warp_stripedxLj256ELj3ELj100EEvPKT0_PKjPS1_,@function
_Z6kernelI23blocked_to_warp_stripedxLj256ELj3ELj100EEvPKT0_PKjPS1_: ; @_Z6kernelI23blocked_to_warp_stripedxLj256ELj3ELj100EEvPKT0_PKjPS1_
; %bb.0:
	s_load_b64 s[4:5], s[0:1], 0x0
	v_mul_u32_u24_e32 v1, 3, v0
	s_mov_b32 s3, 0
	s_mul_i32 s2, s15, 0x300
	v_lshrrev_b32_e32 v7, 5, v0
	s_lshl_b64 s[2:3], s[2:3], 3
	v_lshlrev_b32_e32 v1, 3, v1
	s_delay_alu instid0(VALU_DEP_2) | instskip(SKIP_1) | instid1(VALU_DEP_2)
	v_mul_u32_u24_e32 v8, 0x60, v7
	v_mbcnt_lo_u32_b32 v7, -1, 0
	v_lshlrev_b32_e32 v9, 3, v8
	s_delay_alu instid0(VALU_DEP_2) | instskip(NEXT) | instid1(VALU_DEP_2)
	v_or_b32_e32 v10, v7, v8
	v_mad_u32_u24 v8, v7, 24, v9
	s_waitcnt lgkmcnt(0)
	s_add_u32 s4, s4, s2
	s_addc_u32 s5, s5, s3
	v_lshlrev_b32_e32 v9, 3, v10
	s_clause 0x1
	global_load_b64 v[5:6], v1, s[4:5] offset:16
	global_load_b128 v[1:4], v1, s[4:5]
	s_movk_i32 s4, 0x64
.LBB74_1:                               ; =>This Inner Loop Header: Depth=1
	s_waitcnt vmcnt(0)
	ds_store_2addr_b64 v8, v[1:2], v[3:4] offset1:1
	ds_store_b64 v8, v[5:6] offset:16
	; wave barrier
	ds_load_2addr_b64 v[1:4], v9 offset1:32
	ds_load_b64 v[5:6], v9 offset:512
	s_add_i32 s4, s4, -1
	s_waitcnt lgkmcnt(0)
	s_cmp_lg_u32 s4, 0
	s_barrier
	buffer_gl0_inv
	s_cbranch_scc1 .LBB74_1
; %bb.2:
	s_load_b64 s[0:1], s[0:1], 0x10
	v_and_b32_e32 v0, 0xe0, v0
	v_lshlrev_b32_e32 v7, 3, v7
	s_delay_alu instid0(VALU_DEP_2) | instskip(NEXT) | instid1(VALU_DEP_1)
	v_mul_u32_u24_e32 v0, 3, v0
	v_lshlrev_b32_e32 v0, 3, v0
	s_waitcnt lgkmcnt(0)
	s_add_u32 s0, s0, s2
	s_addc_u32 s1, s1, s3
	v_add_co_u32 v7, s0, s0, v7
	s_delay_alu instid0(VALU_DEP_1) | instskip(NEXT) | instid1(VALU_DEP_2)
	v_add_co_ci_u32_e64 v8, null, s1, 0, s0
	v_add_co_u32 v7, vcc_lo, v7, v0
	s_delay_alu instid0(VALU_DEP_2)
	v_add_co_ci_u32_e32 v8, vcc_lo, 0, v8, vcc_lo
	s_clause 0x2
	global_store_b64 v[7:8], v[1:2], off
	global_store_b64 v[7:8], v[3:4], off offset:256
	global_store_b64 v[7:8], v[5:6], off offset:512
	s_nop 0
	s_sendmsg sendmsg(MSG_DEALLOC_VGPRS)
	s_endpgm
	.section	.rodata,"a",@progbits
	.p2align	6, 0x0
	.amdhsa_kernel _Z6kernelI23blocked_to_warp_stripedxLj256ELj3ELj100EEvPKT0_PKjPS1_
		.amdhsa_group_segment_fixed_size 6144
		.amdhsa_private_segment_fixed_size 0
		.amdhsa_kernarg_size 24
		.amdhsa_user_sgpr_count 15
		.amdhsa_user_sgpr_dispatch_ptr 0
		.amdhsa_user_sgpr_queue_ptr 0
		.amdhsa_user_sgpr_kernarg_segment_ptr 1
		.amdhsa_user_sgpr_dispatch_id 0
		.amdhsa_user_sgpr_private_segment_size 0
		.amdhsa_wavefront_size32 1
		.amdhsa_uses_dynamic_stack 0
		.amdhsa_enable_private_segment 0
		.amdhsa_system_sgpr_workgroup_id_x 1
		.amdhsa_system_sgpr_workgroup_id_y 0
		.amdhsa_system_sgpr_workgroup_id_z 0
		.amdhsa_system_sgpr_workgroup_info 0
		.amdhsa_system_vgpr_workitem_id 0
		.amdhsa_next_free_vgpr 11
		.amdhsa_next_free_sgpr 16
		.amdhsa_reserve_vcc 1
		.amdhsa_float_round_mode_32 0
		.amdhsa_float_round_mode_16_64 0
		.amdhsa_float_denorm_mode_32 3
		.amdhsa_float_denorm_mode_16_64 3
		.amdhsa_dx10_clamp 1
		.amdhsa_ieee_mode 1
		.amdhsa_fp16_overflow 0
		.amdhsa_workgroup_processor_mode 1
		.amdhsa_memory_ordered 1
		.amdhsa_forward_progress 0
		.amdhsa_shared_vgpr_count 0
		.amdhsa_exception_fp_ieee_invalid_op 0
		.amdhsa_exception_fp_denorm_src 0
		.amdhsa_exception_fp_ieee_div_zero 0
		.amdhsa_exception_fp_ieee_overflow 0
		.amdhsa_exception_fp_ieee_underflow 0
		.amdhsa_exception_fp_ieee_inexact 0
		.amdhsa_exception_int_div_zero 0
	.end_amdhsa_kernel
	.section	.text._Z6kernelI23blocked_to_warp_stripedxLj256ELj3ELj100EEvPKT0_PKjPS1_,"axG",@progbits,_Z6kernelI23blocked_to_warp_stripedxLj256ELj3ELj100EEvPKT0_PKjPS1_,comdat
.Lfunc_end74:
	.size	_Z6kernelI23blocked_to_warp_stripedxLj256ELj3ELj100EEvPKT0_PKjPS1_, .Lfunc_end74-_Z6kernelI23blocked_to_warp_stripedxLj256ELj3ELj100EEvPKT0_PKjPS1_
                                        ; -- End function
	.section	.AMDGPU.csdata,"",@progbits
; Kernel info:
; codeLenInByte = 300
; NumSgprs: 18
; NumVgprs: 11
; ScratchSize: 0
; MemoryBound: 0
; FloatMode: 240
; IeeeMode: 1
; LDSByteSize: 6144 bytes/workgroup (compile time only)
; SGPRBlocks: 2
; VGPRBlocks: 1
; NumSGPRsForWavesPerEU: 18
; NumVGPRsForWavesPerEU: 11
; Occupancy: 16
; WaveLimiterHint : 1
; COMPUTE_PGM_RSRC2:SCRATCH_EN: 0
; COMPUTE_PGM_RSRC2:USER_SGPR: 15
; COMPUTE_PGM_RSRC2:TRAP_HANDLER: 0
; COMPUTE_PGM_RSRC2:TGID_X_EN: 1
; COMPUTE_PGM_RSRC2:TGID_Y_EN: 0
; COMPUTE_PGM_RSRC2:TGID_Z_EN: 0
; COMPUTE_PGM_RSRC2:TIDIG_COMP_CNT: 0
	.section	.text._Z6kernelI23blocked_to_warp_stripedxLj256ELj4ELj100EEvPKT0_PKjPS1_,"axG",@progbits,_Z6kernelI23blocked_to_warp_stripedxLj256ELj4ELj100EEvPKT0_PKjPS1_,comdat
	.protected	_Z6kernelI23blocked_to_warp_stripedxLj256ELj4ELj100EEvPKT0_PKjPS1_ ; -- Begin function _Z6kernelI23blocked_to_warp_stripedxLj256ELj4ELj100EEvPKT0_PKjPS1_
	.globl	_Z6kernelI23blocked_to_warp_stripedxLj256ELj4ELj100EEvPKT0_PKjPS1_
	.p2align	8
	.type	_Z6kernelI23blocked_to_warp_stripedxLj256ELj4ELj100EEvPKT0_PKjPS1_,@function
_Z6kernelI23blocked_to_warp_stripedxLj256ELj4ELj100EEvPKT0_PKjPS1_: ; @_Z6kernelI23blocked_to_warp_stripedxLj256ELj4ELj100EEvPKT0_PKjPS1_
; %bb.0:
	s_load_b64 s[4:5], s[0:1], 0x0
	s_mov_b32 s3, 0
	s_lshl_b32 s2, s15, 10
	v_lshlrev_b32_e32 v5, 5, v0
	s_lshl_b64 s[2:3], s[2:3], 3
	v_mbcnt_lo_u32_b32 v9, -1, 0
	v_lshlrev_b32_e32 v10, 2, v0
	s_delay_alu instid0(VALU_DEP_2) | instskip(NEXT) | instid1(VALU_DEP_2)
	v_and_or_b32 v11, 0xe0, v0, v9
	v_and_b32_e32 v0, 0x380, v10
	s_delay_alu instid0(VALU_DEP_2) | instskip(NEXT) | instid1(VALU_DEP_2)
	v_and_b32_e32 v10, 0xf8, v11
	v_or_b32_e32 v12, 32, v0
	v_or_b32_e32 v13, 64, v0
	;; [unrolled: 1-line block ×4, first 2 shown]
	s_waitcnt lgkmcnt(0)
	s_add_u32 s4, s4, s2
	s_addc_u32 s5, s5, s3
	v_lshrrev_b32_e32 v16, 5, v0
	s_clause 0x1
	global_load_b128 v[1:4], v5, s[4:5] offset:16
	global_load_b128 v[5:8], v5, s[4:5]
	v_lshrrev_b32_e32 v12, 5, v12
	v_lshrrev_b32_e32 v13, 5, v13
	;; [unrolled: 1-line block ×3, first 2 shown]
	v_lshl_add_u32 v10, v11, 5, v10
	v_add_lshl_u32 v11, v16, v15, 3
	v_add_lshl_u32 v12, v12, v15, 3
	;; [unrolled: 1-line block ×4, first 2 shown]
	s_movk_i32 s4, 0x64
.LBB75_1:                               ; =>This Inner Loop Header: Depth=1
	s_waitcnt vmcnt(0)
	ds_store_2addr_b64 v10, v[5:6], v[7:8] offset1:1
	ds_store_2addr_b64 v10, v[1:2], v[3:4] offset0:2 offset1:3
	; wave barrier
	ds_load_b64 v[5:6], v11
	ds_load_b64 v[7:8], v12 offset:256
	ds_load_b64 v[1:2], v13 offset:512
	;; [unrolled: 1-line block ×3, first 2 shown]
	s_add_i32 s4, s4, -1
	s_waitcnt lgkmcnt(0)
	s_cmp_lg_u32 s4, 0
	s_barrier
	buffer_gl0_inv
	s_cbranch_scc1 .LBB75_1
; %bb.2:
	s_load_b64 s[0:1], s[0:1], 0x10
	v_lshlrev_b32_e32 v9, 3, v9
	v_lshlrev_b32_e32 v0, 3, v0
	s_waitcnt lgkmcnt(0)
	s_add_u32 s0, s0, s2
	s_addc_u32 s1, s1, s3
	v_add_co_u32 v9, s0, s0, v9
	s_delay_alu instid0(VALU_DEP_1) | instskip(NEXT) | instid1(VALU_DEP_2)
	v_add_co_ci_u32_e64 v10, null, s1, 0, s0
	v_add_co_u32 v9, vcc_lo, v9, v0
	s_delay_alu instid0(VALU_DEP_2)
	v_add_co_ci_u32_e32 v10, vcc_lo, 0, v10, vcc_lo
	s_clause 0x3
	global_store_b64 v[9:10], v[5:6], off
	global_store_b64 v[9:10], v[7:8], off offset:256
	global_store_b64 v[9:10], v[1:2], off offset:512
	;; [unrolled: 1-line block ×3, first 2 shown]
	s_nop 0
	s_sendmsg sendmsg(MSG_DEALLOC_VGPRS)
	s_endpgm
	.section	.rodata,"a",@progbits
	.p2align	6, 0x0
	.amdhsa_kernel _Z6kernelI23blocked_to_warp_stripedxLj256ELj4ELj100EEvPKT0_PKjPS1_
		.amdhsa_group_segment_fixed_size 8448
		.amdhsa_private_segment_fixed_size 0
		.amdhsa_kernarg_size 24
		.amdhsa_user_sgpr_count 15
		.amdhsa_user_sgpr_dispatch_ptr 0
		.amdhsa_user_sgpr_queue_ptr 0
		.amdhsa_user_sgpr_kernarg_segment_ptr 1
		.amdhsa_user_sgpr_dispatch_id 0
		.amdhsa_user_sgpr_private_segment_size 0
		.amdhsa_wavefront_size32 1
		.amdhsa_uses_dynamic_stack 0
		.amdhsa_enable_private_segment 0
		.amdhsa_system_sgpr_workgroup_id_x 1
		.amdhsa_system_sgpr_workgroup_id_y 0
		.amdhsa_system_sgpr_workgroup_id_z 0
		.amdhsa_system_sgpr_workgroup_info 0
		.amdhsa_system_vgpr_workitem_id 0
		.amdhsa_next_free_vgpr 17
		.amdhsa_next_free_sgpr 16
		.amdhsa_reserve_vcc 1
		.amdhsa_float_round_mode_32 0
		.amdhsa_float_round_mode_16_64 0
		.amdhsa_float_denorm_mode_32 3
		.amdhsa_float_denorm_mode_16_64 3
		.amdhsa_dx10_clamp 1
		.amdhsa_ieee_mode 1
		.amdhsa_fp16_overflow 0
		.amdhsa_workgroup_processor_mode 1
		.amdhsa_memory_ordered 1
		.amdhsa_forward_progress 0
		.amdhsa_shared_vgpr_count 0
		.amdhsa_exception_fp_ieee_invalid_op 0
		.amdhsa_exception_fp_denorm_src 0
		.amdhsa_exception_fp_ieee_div_zero 0
		.amdhsa_exception_fp_ieee_overflow 0
		.amdhsa_exception_fp_ieee_underflow 0
		.amdhsa_exception_fp_ieee_inexact 0
		.amdhsa_exception_int_div_zero 0
	.end_amdhsa_kernel
	.section	.text._Z6kernelI23blocked_to_warp_stripedxLj256ELj4ELj100EEvPKT0_PKjPS1_,"axG",@progbits,_Z6kernelI23blocked_to_warp_stripedxLj256ELj4ELj100EEvPKT0_PKjPS1_,comdat
.Lfunc_end75:
	.size	_Z6kernelI23blocked_to_warp_stripedxLj256ELj4ELj100EEvPKT0_PKjPS1_, .Lfunc_end75-_Z6kernelI23blocked_to_warp_stripedxLj256ELj4ELj100EEvPKT0_PKjPS1_
                                        ; -- End function
	.section	.AMDGPU.csdata,"",@progbits
; Kernel info:
; codeLenInByte = 376
; NumSgprs: 18
; NumVgprs: 17
; ScratchSize: 0
; MemoryBound: 0
; FloatMode: 240
; IeeeMode: 1
; LDSByteSize: 8448 bytes/workgroup (compile time only)
; SGPRBlocks: 2
; VGPRBlocks: 2
; NumSGPRsForWavesPerEU: 18
; NumVGPRsForWavesPerEU: 17
; Occupancy: 16
; WaveLimiterHint : 1
; COMPUTE_PGM_RSRC2:SCRATCH_EN: 0
; COMPUTE_PGM_RSRC2:USER_SGPR: 15
; COMPUTE_PGM_RSRC2:TRAP_HANDLER: 0
; COMPUTE_PGM_RSRC2:TGID_X_EN: 1
; COMPUTE_PGM_RSRC2:TGID_Y_EN: 0
; COMPUTE_PGM_RSRC2:TGID_Z_EN: 0
; COMPUTE_PGM_RSRC2:TIDIG_COMP_CNT: 0
	.section	.text._Z6kernelI23blocked_to_warp_stripedxLj256ELj7ELj100EEvPKT0_PKjPS1_,"axG",@progbits,_Z6kernelI23blocked_to_warp_stripedxLj256ELj7ELj100EEvPKT0_PKjPS1_,comdat
	.protected	_Z6kernelI23blocked_to_warp_stripedxLj256ELj7ELj100EEvPKT0_PKjPS1_ ; -- Begin function _Z6kernelI23blocked_to_warp_stripedxLj256ELj7ELj100EEvPKT0_PKjPS1_
	.globl	_Z6kernelI23blocked_to_warp_stripedxLj256ELj7ELj100EEvPKT0_PKjPS1_
	.p2align	8
	.type	_Z6kernelI23blocked_to_warp_stripedxLj256ELj7ELj100EEvPKT0_PKjPS1_,@function
_Z6kernelI23blocked_to_warp_stripedxLj256ELj7ELj100EEvPKT0_PKjPS1_: ; @_Z6kernelI23blocked_to_warp_stripedxLj256ELj7ELj100EEvPKT0_PKjPS1_
; %bb.0:
	s_load_b64 s[4:5], s[0:1], 0x0
	v_mul_u32_u24_e32 v1, 7, v0
	s_mov_b32 s3, 0
	s_mul_i32 s2, s15, 0x700
	v_lshrrev_b32_e32 v15, 5, v0
	s_lshl_b64 s[2:3], s[2:3], 3
	v_lshlrev_b32_e32 v9, 3, v1
	s_delay_alu instid0(VALU_DEP_2) | instskip(SKIP_1) | instid1(VALU_DEP_2)
	v_mul_u32_u24_e32 v16, 0xe0, v15
	v_mbcnt_lo_u32_b32 v15, -1, 0
	v_lshlrev_b32_e32 v17, 3, v16
	s_delay_alu instid0(VALU_DEP_2) | instskip(NEXT) | instid1(VALU_DEP_2)
	v_or_b32_e32 v18, v15, v16
	v_mad_u32_u24 v16, v15, 56, v17
	s_waitcnt lgkmcnt(0)
	s_add_u32 s4, s4, s2
	s_addc_u32 s5, s5, s3
	v_lshlrev_b32_e32 v17, 3, v18
	s_clause 0x3
	global_load_b64 v[13:14], v9, s[4:5] offset:48
	global_load_b128 v[1:4], v9, s[4:5] offset:32
	global_load_b128 v[5:8], v9, s[4:5] offset:16
	global_load_b128 v[9:12], v9, s[4:5]
	s_movk_i32 s4, 0x64
	.p2align	6
.LBB76_1:                               ; =>This Inner Loop Header: Depth=1
	s_waitcnt vmcnt(0)
	ds_store_2addr_b64 v16, v[9:10], v[11:12] offset1:1
	ds_store_2addr_b64 v16, v[5:6], v[7:8] offset0:2 offset1:3
	ds_store_2addr_b64 v16, v[1:2], v[3:4] offset0:4 offset1:5
	ds_store_b64 v16, v[13:14] offset:48
	; wave barrier
	ds_load_2addr_b64 v[9:12], v17 offset1:32
	ds_load_2addr_b64 v[5:8], v17 offset0:64 offset1:96
	ds_load_2addr_b64 v[1:4], v17 offset0:128 offset1:160
	ds_load_b64 v[13:14], v17 offset:1536
	s_add_i32 s4, s4, -1
	s_waitcnt lgkmcnt(0)
	s_cmp_lg_u32 s4, 0
	s_barrier
	buffer_gl0_inv
	s_cbranch_scc1 .LBB76_1
; %bb.2:
	s_load_b64 s[0:1], s[0:1], 0x10
	v_and_b32_e32 v0, 0xe0, v0
	v_lshlrev_b32_e32 v15, 3, v15
	s_delay_alu instid0(VALU_DEP_2) | instskip(NEXT) | instid1(VALU_DEP_1)
	v_mul_u32_u24_e32 v0, 7, v0
	v_lshlrev_b32_e32 v0, 3, v0
	s_waitcnt lgkmcnt(0)
	s_add_u32 s0, s0, s2
	s_addc_u32 s1, s1, s3
	v_add_co_u32 v15, s0, s0, v15
	s_delay_alu instid0(VALU_DEP_1) | instskip(NEXT) | instid1(VALU_DEP_2)
	v_add_co_ci_u32_e64 v16, null, s1, 0, s0
	v_add_co_u32 v15, vcc_lo, v15, v0
	s_delay_alu instid0(VALU_DEP_2)
	v_add_co_ci_u32_e32 v16, vcc_lo, 0, v16, vcc_lo
	s_clause 0x6
	global_store_b64 v[15:16], v[9:10], off
	global_store_b64 v[15:16], v[11:12], off offset:256
	global_store_b64 v[15:16], v[5:6], off offset:512
	;; [unrolled: 1-line block ×6, first 2 shown]
	s_nop 0
	s_sendmsg sendmsg(MSG_DEALLOC_VGPRS)
	s_endpgm
	.section	.rodata,"a",@progbits
	.p2align	6, 0x0
	.amdhsa_kernel _Z6kernelI23blocked_to_warp_stripedxLj256ELj7ELj100EEvPKT0_PKjPS1_
		.amdhsa_group_segment_fixed_size 14336
		.amdhsa_private_segment_fixed_size 0
		.amdhsa_kernarg_size 24
		.amdhsa_user_sgpr_count 15
		.amdhsa_user_sgpr_dispatch_ptr 0
		.amdhsa_user_sgpr_queue_ptr 0
		.amdhsa_user_sgpr_kernarg_segment_ptr 1
		.amdhsa_user_sgpr_dispatch_id 0
		.amdhsa_user_sgpr_private_segment_size 0
		.amdhsa_wavefront_size32 1
		.amdhsa_uses_dynamic_stack 0
		.amdhsa_enable_private_segment 0
		.amdhsa_system_sgpr_workgroup_id_x 1
		.amdhsa_system_sgpr_workgroup_id_y 0
		.amdhsa_system_sgpr_workgroup_id_z 0
		.amdhsa_system_sgpr_workgroup_info 0
		.amdhsa_system_vgpr_workitem_id 0
		.amdhsa_next_free_vgpr 19
		.amdhsa_next_free_sgpr 16
		.amdhsa_reserve_vcc 1
		.amdhsa_float_round_mode_32 0
		.amdhsa_float_round_mode_16_64 0
		.amdhsa_float_denorm_mode_32 3
		.amdhsa_float_denorm_mode_16_64 3
		.amdhsa_dx10_clamp 1
		.amdhsa_ieee_mode 1
		.amdhsa_fp16_overflow 0
		.amdhsa_workgroup_processor_mode 1
		.amdhsa_memory_ordered 1
		.amdhsa_forward_progress 0
		.amdhsa_shared_vgpr_count 0
		.amdhsa_exception_fp_ieee_invalid_op 0
		.amdhsa_exception_fp_denorm_src 0
		.amdhsa_exception_fp_ieee_div_zero 0
		.amdhsa_exception_fp_ieee_overflow 0
		.amdhsa_exception_fp_ieee_underflow 0
		.amdhsa_exception_fp_ieee_inexact 0
		.amdhsa_exception_int_div_zero 0
	.end_amdhsa_kernel
	.section	.text._Z6kernelI23blocked_to_warp_stripedxLj256ELj7ELj100EEvPKT0_PKjPS1_,"axG",@progbits,_Z6kernelI23blocked_to_warp_stripedxLj256ELj7ELj100EEvPKT0_PKjPS1_,comdat
.Lfunc_end76:
	.size	_Z6kernelI23blocked_to_warp_stripedxLj256ELj7ELj100EEvPKT0_PKjPS1_, .Lfunc_end76-_Z6kernelI23blocked_to_warp_stripedxLj256ELj7ELj100EEvPKT0_PKjPS1_
                                        ; -- End function
	.section	.AMDGPU.csdata,"",@progbits
; Kernel info:
; codeLenInByte = 380
; NumSgprs: 18
; NumVgprs: 19
; ScratchSize: 0
; MemoryBound: 0
; FloatMode: 240
; IeeeMode: 1
; LDSByteSize: 14336 bytes/workgroup (compile time only)
; SGPRBlocks: 2
; VGPRBlocks: 2
; NumSGPRsForWavesPerEU: 18
; NumVGPRsForWavesPerEU: 19
; Occupancy: 16
; WaveLimiterHint : 1
; COMPUTE_PGM_RSRC2:SCRATCH_EN: 0
; COMPUTE_PGM_RSRC2:USER_SGPR: 15
; COMPUTE_PGM_RSRC2:TRAP_HANDLER: 0
; COMPUTE_PGM_RSRC2:TGID_X_EN: 1
; COMPUTE_PGM_RSRC2:TGID_Y_EN: 0
; COMPUTE_PGM_RSRC2:TGID_Z_EN: 0
; COMPUTE_PGM_RSRC2:TIDIG_COMP_CNT: 0
	.section	.text._Z6kernelI23blocked_to_warp_stripedxLj256ELj8ELj100EEvPKT0_PKjPS1_,"axG",@progbits,_Z6kernelI23blocked_to_warp_stripedxLj256ELj8ELj100EEvPKT0_PKjPS1_,comdat
	.protected	_Z6kernelI23blocked_to_warp_stripedxLj256ELj8ELj100EEvPKT0_PKjPS1_ ; -- Begin function _Z6kernelI23blocked_to_warp_stripedxLj256ELj8ELj100EEvPKT0_PKjPS1_
	.globl	_Z6kernelI23blocked_to_warp_stripedxLj256ELj8ELj100EEvPKT0_PKjPS1_
	.p2align	8
	.type	_Z6kernelI23blocked_to_warp_stripedxLj256ELj8ELj100EEvPKT0_PKjPS1_,@function
_Z6kernelI23blocked_to_warp_stripedxLj256ELj8ELj100EEvPKT0_PKjPS1_: ; @_Z6kernelI23blocked_to_warp_stripedxLj256ELj8ELj100EEvPKT0_PKjPS1_
; %bb.0:
	s_load_b64 s[4:5], s[0:1], 0x0
	s_mov_b32 s3, 0
	s_lshl_b32 s2, s15, 11
	v_lshlrev_b32_e32 v13, 6, v0
	s_lshl_b64 s[2:3], s[2:3], 3
	v_mbcnt_lo_u32_b32 v17, -1, 0
	v_lshlrev_b32_e32 v18, 3, v0
	s_delay_alu instid0(VALU_DEP_2) | instskip(NEXT) | instid1(VALU_DEP_2)
	v_and_or_b32 v19, 0xe0, v0, v17
	v_and_b32_e32 v0, 0x700, v18
	s_delay_alu instid0(VALU_DEP_2) | instskip(NEXT) | instid1(VALU_DEP_2)
	v_lshlrev_b32_e32 v18, 1, v19
	v_or_b32_e32 v26, v17, v0
	v_lshrrev_b32_e32 v22, 5, v0
	v_or_b32_e32 v20, 32, v0
	v_or_b32_e32 v21, 64, v0
	s_waitcnt lgkmcnt(0)
	s_add_u32 s4, s4, s2
	s_addc_u32 s5, s5, s3
	v_and_b32_e32 v18, 0x1f8, v18
	s_clause 0x3
	global_load_b128 v[1:4], v13, s[4:5] offset:48
	global_load_b128 v[5:8], v13, s[4:5] offset:32
	;; [unrolled: 1-line block ×3, first 2 shown]
	global_load_b128 v[13:16], v13, s[4:5]
	v_or_b32_e32 v23, 0x80, v0
	v_or_b32_e32 v24, 0xa0, v0
	;; [unrolled: 1-line block ×3, first 2 shown]
	v_lshl_add_u32 v18, v19, 6, v18
	v_add_lshl_u32 v19, v22, v26, 3
	v_or_b32_e32 v22, 0x60, v0
	v_or_b32_e32 v27, 0xe0, v0
	v_lshrrev_b32_e32 v20, 5, v20
	v_lshrrev_b32_e32 v21, 5, v21
	;; [unrolled: 1-line block ×7, first 2 shown]
	v_add_lshl_u32 v20, v20, v26, 3
	v_add_lshl_u32 v21, v21, v26, 3
	;; [unrolled: 1-line block ×7, first 2 shown]
	s_movk_i32 s4, 0x64
	.p2align	6
.LBB77_1:                               ; =>This Inner Loop Header: Depth=1
	s_waitcnt vmcnt(0)
	ds_store_2addr_b64 v18, v[13:14], v[15:16] offset1:1
	ds_store_2addr_b64 v18, v[9:10], v[11:12] offset0:2 offset1:3
	ds_store_2addr_b64 v18, v[5:6], v[7:8] offset0:4 offset1:5
	;; [unrolled: 1-line block ×3, first 2 shown]
	; wave barrier
	ds_load_b64 v[13:14], v19
	ds_load_b64 v[15:16], v20 offset:256
	ds_load_b64 v[9:10], v21 offset:512
	;; [unrolled: 1-line block ×7, first 2 shown]
	s_add_i32 s4, s4, -1
	s_waitcnt lgkmcnt(0)
	s_cmp_lg_u32 s4, 0
	s_barrier
	buffer_gl0_inv
	s_cbranch_scc1 .LBB77_1
; %bb.2:
	s_load_b64 s[0:1], s[0:1], 0x10
	v_lshlrev_b32_e32 v17, 3, v17
	v_lshlrev_b32_e32 v0, 3, v0
	s_waitcnt lgkmcnt(0)
	s_add_u32 s0, s0, s2
	s_addc_u32 s1, s1, s3
	v_add_co_u32 v17, s0, s0, v17
	s_delay_alu instid0(VALU_DEP_1) | instskip(NEXT) | instid1(VALU_DEP_2)
	v_add_co_ci_u32_e64 v18, null, s1, 0, s0
	v_add_co_u32 v17, vcc_lo, v17, v0
	s_delay_alu instid0(VALU_DEP_2)
	v_add_co_ci_u32_e32 v18, vcc_lo, 0, v18, vcc_lo
	s_clause 0x7
	global_store_b64 v[17:18], v[13:14], off
	global_store_b64 v[17:18], v[15:16], off offset:256
	global_store_b64 v[17:18], v[9:10], off offset:512
	;; [unrolled: 1-line block ×7, first 2 shown]
	s_nop 0
	s_sendmsg sendmsg(MSG_DEALLOC_VGPRS)
	s_endpgm
	.section	.rodata,"a",@progbits
	.p2align	6, 0x0
	.amdhsa_kernel _Z6kernelI23blocked_to_warp_stripedxLj256ELj8ELj100EEvPKT0_PKjPS1_
		.amdhsa_group_segment_fixed_size 16896
		.amdhsa_private_segment_fixed_size 0
		.amdhsa_kernarg_size 24
		.amdhsa_user_sgpr_count 15
		.amdhsa_user_sgpr_dispatch_ptr 0
		.amdhsa_user_sgpr_queue_ptr 0
		.amdhsa_user_sgpr_kernarg_segment_ptr 1
		.amdhsa_user_sgpr_dispatch_id 0
		.amdhsa_user_sgpr_private_segment_size 0
		.amdhsa_wavefront_size32 1
		.amdhsa_uses_dynamic_stack 0
		.amdhsa_enable_private_segment 0
		.amdhsa_system_sgpr_workgroup_id_x 1
		.amdhsa_system_sgpr_workgroup_id_y 0
		.amdhsa_system_sgpr_workgroup_id_z 0
		.amdhsa_system_sgpr_workgroup_info 0
		.amdhsa_system_vgpr_workitem_id 0
		.amdhsa_next_free_vgpr 28
		.amdhsa_next_free_sgpr 16
		.amdhsa_reserve_vcc 1
		.amdhsa_float_round_mode_32 0
		.amdhsa_float_round_mode_16_64 0
		.amdhsa_float_denorm_mode_32 3
		.amdhsa_float_denorm_mode_16_64 3
		.amdhsa_dx10_clamp 1
		.amdhsa_ieee_mode 1
		.amdhsa_fp16_overflow 0
		.amdhsa_workgroup_processor_mode 1
		.amdhsa_memory_ordered 1
		.amdhsa_forward_progress 0
		.amdhsa_shared_vgpr_count 0
		.amdhsa_exception_fp_ieee_invalid_op 0
		.amdhsa_exception_fp_denorm_src 0
		.amdhsa_exception_fp_ieee_div_zero 0
		.amdhsa_exception_fp_ieee_overflow 0
		.amdhsa_exception_fp_ieee_underflow 0
		.amdhsa_exception_fp_ieee_inexact 0
		.amdhsa_exception_int_div_zero 0
	.end_amdhsa_kernel
	.section	.text._Z6kernelI23blocked_to_warp_stripedxLj256ELj8ELj100EEvPKT0_PKjPS1_,"axG",@progbits,_Z6kernelI23blocked_to_warp_stripedxLj256ELj8ELj100EEvPKT0_PKjPS1_,comdat
.Lfunc_end77:
	.size	_Z6kernelI23blocked_to_warp_stripedxLj256ELj8ELj100EEvPKT0_PKjPS1_, .Lfunc_end77-_Z6kernelI23blocked_to_warp_stripedxLj256ELj8ELj100EEvPKT0_PKjPS1_
                                        ; -- End function
	.section	.AMDGPU.csdata,"",@progbits
; Kernel info:
; codeLenInByte = 556
; NumSgprs: 18
; NumVgprs: 28
; ScratchSize: 0
; MemoryBound: 0
; FloatMode: 240
; IeeeMode: 1
; LDSByteSize: 16896 bytes/workgroup (compile time only)
; SGPRBlocks: 2
; VGPRBlocks: 3
; NumSGPRsForWavesPerEU: 18
; NumVGPRsForWavesPerEU: 28
; Occupancy: 14
; WaveLimiterHint : 1
; COMPUTE_PGM_RSRC2:SCRATCH_EN: 0
; COMPUTE_PGM_RSRC2:USER_SGPR: 15
; COMPUTE_PGM_RSRC2:TRAP_HANDLER: 0
; COMPUTE_PGM_RSRC2:TGID_X_EN: 1
; COMPUTE_PGM_RSRC2:TGID_Y_EN: 0
; COMPUTE_PGM_RSRC2:TGID_Z_EN: 0
; COMPUTE_PGM_RSRC2:TIDIG_COMP_CNT: 0
	.section	.text._Z6kernelI23blocked_to_warp_stripedN15benchmark_utils11custom_typeIffEELj256ELj1ELj100EEvPKT0_PKjPS4_,"axG",@progbits,_Z6kernelI23blocked_to_warp_stripedN15benchmark_utils11custom_typeIffEELj256ELj1ELj100EEvPKT0_PKjPS4_,comdat
	.protected	_Z6kernelI23blocked_to_warp_stripedN15benchmark_utils11custom_typeIffEELj256ELj1ELj100EEvPKT0_PKjPS4_ ; -- Begin function _Z6kernelI23blocked_to_warp_stripedN15benchmark_utils11custom_typeIffEELj256ELj1ELj100EEvPKT0_PKjPS4_
	.globl	_Z6kernelI23blocked_to_warp_stripedN15benchmark_utils11custom_typeIffEELj256ELj1ELj100EEvPKT0_PKjPS4_
	.p2align	8
	.type	_Z6kernelI23blocked_to_warp_stripedN15benchmark_utils11custom_typeIffEELj256ELj1ELj100EEvPKT0_PKjPS4_,@function
_Z6kernelI23blocked_to_warp_stripedN15benchmark_utils11custom_typeIffEELj256ELj1ELj100EEvPKT0_PKjPS4_: ; @_Z6kernelI23blocked_to_warp_stripedN15benchmark_utils11custom_typeIffEELj256ELj1ELj100EEvPKT0_PKjPS4_
; %bb.0:
	s_load_b64 s[4:5], s[0:1], 0x0
	s_lshl_b32 s2, s15, 8
	s_mov_b32 s3, 0
	v_lshlrev_b32_e32 v1, 3, v0
	s_lshl_b64 s[2:3], s[2:3], 3
	v_mbcnt_lo_u32_b32 v3, -1, 0
	v_and_b32_e32 v0, 0xe0, v0
	s_delay_alu instid0(VALU_DEP_1) | instskip(NEXT) | instid1(VALU_DEP_1)
	v_or_b32_e32 v4, v3, v0
	v_lshlrev_b32_e32 v4, 3, v4
	s_waitcnt lgkmcnt(0)
	s_add_u32 s4, s4, s2
	s_addc_u32 s5, s5, s3
	global_load_b64 v[1:2], v1, s[4:5]
	s_movk_i32 s4, 0x64
.LBB78_1:                               ; =>This Inner Loop Header: Depth=1
	s_waitcnt vmcnt(0)
	ds_store_b64 v4, v[1:2]
	; wave barrier
	ds_load_b64 v[1:2], v4
	s_add_i32 s4, s4, -1
	s_waitcnt lgkmcnt(0)
	s_cmp_lg_u32 s4, 0
	s_barrier
	buffer_gl0_inv
	s_cbranch_scc1 .LBB78_1
; %bb.2:
	s_load_b64 s[0:1], s[0:1], 0x10
	v_lshlrev_b32_e32 v3, 3, v3
	v_lshlrev_b32_e32 v0, 3, v0
	s_waitcnt lgkmcnt(0)
	s_add_u32 s0, s0, s2
	s_addc_u32 s1, s1, s3
	v_add_co_u32 v3, s0, s0, v3
	s_delay_alu instid0(VALU_DEP_1) | instskip(NEXT) | instid1(VALU_DEP_2)
	v_add_co_ci_u32_e64 v4, null, s1, 0, s0
	v_add_co_u32 v3, vcc_lo, v3, v0
	s_delay_alu instid0(VALU_DEP_2)
	v_add_co_ci_u32_e32 v4, vcc_lo, 0, v4, vcc_lo
	global_store_b64 v[3:4], v[1:2], off
	s_nop 0
	s_sendmsg sendmsg(MSG_DEALLOC_VGPRS)
	s_endpgm
	.section	.rodata,"a",@progbits
	.p2align	6, 0x0
	.amdhsa_kernel _Z6kernelI23blocked_to_warp_stripedN15benchmark_utils11custom_typeIffEELj256ELj1ELj100EEvPKT0_PKjPS4_
		.amdhsa_group_segment_fixed_size 2048
		.amdhsa_private_segment_fixed_size 0
		.amdhsa_kernarg_size 24
		.amdhsa_user_sgpr_count 15
		.amdhsa_user_sgpr_dispatch_ptr 0
		.amdhsa_user_sgpr_queue_ptr 0
		.amdhsa_user_sgpr_kernarg_segment_ptr 1
		.amdhsa_user_sgpr_dispatch_id 0
		.amdhsa_user_sgpr_private_segment_size 0
		.amdhsa_wavefront_size32 1
		.amdhsa_uses_dynamic_stack 0
		.amdhsa_enable_private_segment 0
		.amdhsa_system_sgpr_workgroup_id_x 1
		.amdhsa_system_sgpr_workgroup_id_y 0
		.amdhsa_system_sgpr_workgroup_id_z 0
		.amdhsa_system_sgpr_workgroup_info 0
		.amdhsa_system_vgpr_workitem_id 0
		.amdhsa_next_free_vgpr 5
		.amdhsa_next_free_sgpr 16
		.amdhsa_reserve_vcc 1
		.amdhsa_float_round_mode_32 0
		.amdhsa_float_round_mode_16_64 0
		.amdhsa_float_denorm_mode_32 3
		.amdhsa_float_denorm_mode_16_64 3
		.amdhsa_dx10_clamp 1
		.amdhsa_ieee_mode 1
		.amdhsa_fp16_overflow 0
		.amdhsa_workgroup_processor_mode 1
		.amdhsa_memory_ordered 1
		.amdhsa_forward_progress 0
		.amdhsa_shared_vgpr_count 0
		.amdhsa_exception_fp_ieee_invalid_op 0
		.amdhsa_exception_fp_denorm_src 0
		.amdhsa_exception_fp_ieee_div_zero 0
		.amdhsa_exception_fp_ieee_overflow 0
		.amdhsa_exception_fp_ieee_underflow 0
		.amdhsa_exception_fp_ieee_inexact 0
		.amdhsa_exception_int_div_zero 0
	.end_amdhsa_kernel
	.section	.text._Z6kernelI23blocked_to_warp_stripedN15benchmark_utils11custom_typeIffEELj256ELj1ELj100EEvPKT0_PKjPS4_,"axG",@progbits,_Z6kernelI23blocked_to_warp_stripedN15benchmark_utils11custom_typeIffEELj256ELj1ELj100EEvPKT0_PKjPS4_,comdat
.Lfunc_end78:
	.size	_Z6kernelI23blocked_to_warp_stripedN15benchmark_utils11custom_typeIffEELj256ELj1ELj100EEvPKT0_PKjPS4_, .Lfunc_end78-_Z6kernelI23blocked_to_warp_stripedN15benchmark_utils11custom_typeIffEELj256ELj1ELj100EEvPKT0_PKjPS4_
                                        ; -- End function
	.section	.AMDGPU.csdata,"",@progbits
; Kernel info:
; codeLenInByte = 208
; NumSgprs: 18
; NumVgprs: 5
; ScratchSize: 0
; MemoryBound: 0
; FloatMode: 240
; IeeeMode: 1
; LDSByteSize: 2048 bytes/workgroup (compile time only)
; SGPRBlocks: 2
; VGPRBlocks: 0
; NumSGPRsForWavesPerEU: 18
; NumVGPRsForWavesPerEU: 5
; Occupancy: 16
; WaveLimiterHint : 0
; COMPUTE_PGM_RSRC2:SCRATCH_EN: 0
; COMPUTE_PGM_RSRC2:USER_SGPR: 15
; COMPUTE_PGM_RSRC2:TRAP_HANDLER: 0
; COMPUTE_PGM_RSRC2:TGID_X_EN: 1
; COMPUTE_PGM_RSRC2:TGID_Y_EN: 0
; COMPUTE_PGM_RSRC2:TGID_Z_EN: 0
; COMPUTE_PGM_RSRC2:TIDIG_COMP_CNT: 0
	.section	.text._Z6kernelI23blocked_to_warp_stripedN15benchmark_utils11custom_typeIffEELj256ELj2ELj100EEvPKT0_PKjPS4_,"axG",@progbits,_Z6kernelI23blocked_to_warp_stripedN15benchmark_utils11custom_typeIffEELj256ELj2ELj100EEvPKT0_PKjPS4_,comdat
	.protected	_Z6kernelI23blocked_to_warp_stripedN15benchmark_utils11custom_typeIffEELj256ELj2ELj100EEvPKT0_PKjPS4_ ; -- Begin function _Z6kernelI23blocked_to_warp_stripedN15benchmark_utils11custom_typeIffEELj256ELj2ELj100EEvPKT0_PKjPS4_
	.globl	_Z6kernelI23blocked_to_warp_stripedN15benchmark_utils11custom_typeIffEELj256ELj2ELj100EEvPKT0_PKjPS4_
	.p2align	8
	.type	_Z6kernelI23blocked_to_warp_stripedN15benchmark_utils11custom_typeIffEELj256ELj2ELj100EEvPKT0_PKjPS4_,@function
_Z6kernelI23blocked_to_warp_stripedN15benchmark_utils11custom_typeIffEELj256ELj2ELj100EEvPKT0_PKjPS4_: ; @_Z6kernelI23blocked_to_warp_stripedN15benchmark_utils11custom_typeIffEELj256ELj2ELj100EEvPKT0_PKjPS4_
; %bb.0:
	s_load_b64 s[4:5], s[0:1], 0x0
	s_lshl_b32 s2, s15, 9
	s_mov_b32 s3, 0
	v_lshlrev_b32_e32 v1, 4, v0
	s_lshl_b64 s[2:3], s[2:3], 3
	v_mbcnt_lo_u32_b32 v5, -1, 0
	v_lshlrev_b32_e32 v6, 1, v0
	s_delay_alu instid0(VALU_DEP_2) | instskip(NEXT) | instid1(VALU_DEP_2)
	v_and_or_b32 v7, 0xe0, v0, v5
	v_and_b32_e32 v0, 0x1c0, v6
	s_delay_alu instid0(VALU_DEP_2) | instskip(NEXT) | instid1(VALU_DEP_2)
	v_lshrrev_b16 v6, 1, v7
	v_or_b32_e32 v8, 32, v0
	v_or_b32_e32 v9, v5, v0
	v_lshrrev_b32_e32 v10, 5, v0
	s_delay_alu instid0(VALU_DEP_4)
	v_and_b32_e32 v6, 0x78, v6
	s_waitcnt lgkmcnt(0)
	s_add_u32 s4, s4, s2
	s_addc_u32 s5, s5, s3
	v_lshrrev_b32_e32 v8, 5, v8
	global_load_b128 v[1:4], v1, s[4:5]
	v_lshl_add_u32 v6, v7, 4, v6
	v_add_lshl_u32 v7, v10, v9, 3
	s_movk_i32 s4, 0x64
	v_add_lshl_u32 v8, v8, v9, 3
.LBB79_1:                               ; =>This Inner Loop Header: Depth=1
	s_waitcnt vmcnt(0)
	ds_store_2addr_b64 v6, v[1:2], v[3:4] offset1:1
	; wave barrier
	ds_load_b64 v[1:2], v7
	ds_load_b64 v[3:4], v8 offset:256
	s_add_i32 s4, s4, -1
	s_waitcnt lgkmcnt(0)
	s_cmp_lg_u32 s4, 0
	s_barrier
	buffer_gl0_inv
	s_cbranch_scc1 .LBB79_1
; %bb.2:
	s_load_b64 s[0:1], s[0:1], 0x10
	v_lshlrev_b32_e32 v5, 3, v5
	v_lshlrev_b32_e32 v0, 3, v0
	s_waitcnt lgkmcnt(0)
	s_add_u32 s0, s0, s2
	s_addc_u32 s1, s1, s3
	v_add_co_u32 v5, s0, s0, v5
	s_delay_alu instid0(VALU_DEP_1) | instskip(NEXT) | instid1(VALU_DEP_2)
	v_add_co_ci_u32_e64 v6, null, s1, 0, s0
	v_add_co_u32 v5, vcc_lo, v5, v0
	s_delay_alu instid0(VALU_DEP_2)
	v_add_co_ci_u32_e32 v6, vcc_lo, 0, v6, vcc_lo
	s_clause 0x1
	global_store_b64 v[5:6], v[1:2], off
	global_store_b64 v[5:6], v[3:4], off offset:256
	s_nop 0
	s_sendmsg sendmsg(MSG_DEALLOC_VGPRS)
	s_endpgm
	.section	.rodata,"a",@progbits
	.p2align	6, 0x0
	.amdhsa_kernel _Z6kernelI23blocked_to_warp_stripedN15benchmark_utils11custom_typeIffEELj256ELj2ELj100EEvPKT0_PKjPS4_
		.amdhsa_group_segment_fixed_size 4224
		.amdhsa_private_segment_fixed_size 0
		.amdhsa_kernarg_size 24
		.amdhsa_user_sgpr_count 15
		.amdhsa_user_sgpr_dispatch_ptr 0
		.amdhsa_user_sgpr_queue_ptr 0
		.amdhsa_user_sgpr_kernarg_segment_ptr 1
		.amdhsa_user_sgpr_dispatch_id 0
		.amdhsa_user_sgpr_private_segment_size 0
		.amdhsa_wavefront_size32 1
		.amdhsa_uses_dynamic_stack 0
		.amdhsa_enable_private_segment 0
		.amdhsa_system_sgpr_workgroup_id_x 1
		.amdhsa_system_sgpr_workgroup_id_y 0
		.amdhsa_system_sgpr_workgroup_id_z 0
		.amdhsa_system_sgpr_workgroup_info 0
		.amdhsa_system_vgpr_workitem_id 0
		.amdhsa_next_free_vgpr 11
		.amdhsa_next_free_sgpr 16
		.amdhsa_reserve_vcc 1
		.amdhsa_float_round_mode_32 0
		.amdhsa_float_round_mode_16_64 0
		.amdhsa_float_denorm_mode_32 3
		.amdhsa_float_denorm_mode_16_64 3
		.amdhsa_dx10_clamp 1
		.amdhsa_ieee_mode 1
		.amdhsa_fp16_overflow 0
		.amdhsa_workgroup_processor_mode 1
		.amdhsa_memory_ordered 1
		.amdhsa_forward_progress 0
		.amdhsa_shared_vgpr_count 0
		.amdhsa_exception_fp_ieee_invalid_op 0
		.amdhsa_exception_fp_denorm_src 0
		.amdhsa_exception_fp_ieee_div_zero 0
		.amdhsa_exception_fp_ieee_overflow 0
		.amdhsa_exception_fp_ieee_underflow 0
		.amdhsa_exception_fp_ieee_inexact 0
		.amdhsa_exception_int_div_zero 0
	.end_amdhsa_kernel
	.section	.text._Z6kernelI23blocked_to_warp_stripedN15benchmark_utils11custom_typeIffEELj256ELj2ELj100EEvPKT0_PKjPS4_,"axG",@progbits,_Z6kernelI23blocked_to_warp_stripedN15benchmark_utils11custom_typeIffEELj256ELj2ELj100EEvPKT0_PKjPS4_,comdat
.Lfunc_end79:
	.size	_Z6kernelI23blocked_to_warp_stripedN15benchmark_utils11custom_typeIffEELj256ELj2ELj100EEvPKT0_PKjPS4_, .Lfunc_end79-_Z6kernelI23blocked_to_warp_stripedN15benchmark_utils11custom_typeIffEELj256ELj2ELj100EEvPKT0_PKjPS4_
                                        ; -- End function
	.section	.AMDGPU.csdata,"",@progbits
; Kernel info:
; codeLenInByte = 300
; NumSgprs: 18
; NumVgprs: 11
; ScratchSize: 0
; MemoryBound: 0
; FloatMode: 240
; IeeeMode: 1
; LDSByteSize: 4224 bytes/workgroup (compile time only)
; SGPRBlocks: 2
; VGPRBlocks: 1
; NumSGPRsForWavesPerEU: 18
; NumVGPRsForWavesPerEU: 11
; Occupancy: 16
; WaveLimiterHint : 1
; COMPUTE_PGM_RSRC2:SCRATCH_EN: 0
; COMPUTE_PGM_RSRC2:USER_SGPR: 15
; COMPUTE_PGM_RSRC2:TRAP_HANDLER: 0
; COMPUTE_PGM_RSRC2:TGID_X_EN: 1
; COMPUTE_PGM_RSRC2:TGID_Y_EN: 0
; COMPUTE_PGM_RSRC2:TGID_Z_EN: 0
; COMPUTE_PGM_RSRC2:TIDIG_COMP_CNT: 0
	.section	.text._Z6kernelI23blocked_to_warp_stripedN15benchmark_utils11custom_typeIffEELj256ELj3ELj100EEvPKT0_PKjPS4_,"axG",@progbits,_Z6kernelI23blocked_to_warp_stripedN15benchmark_utils11custom_typeIffEELj256ELj3ELj100EEvPKT0_PKjPS4_,comdat
	.protected	_Z6kernelI23blocked_to_warp_stripedN15benchmark_utils11custom_typeIffEELj256ELj3ELj100EEvPKT0_PKjPS4_ ; -- Begin function _Z6kernelI23blocked_to_warp_stripedN15benchmark_utils11custom_typeIffEELj256ELj3ELj100EEvPKT0_PKjPS4_
	.globl	_Z6kernelI23blocked_to_warp_stripedN15benchmark_utils11custom_typeIffEELj256ELj3ELj100EEvPKT0_PKjPS4_
	.p2align	8
	.type	_Z6kernelI23blocked_to_warp_stripedN15benchmark_utils11custom_typeIffEELj256ELj3ELj100EEvPKT0_PKjPS4_,@function
_Z6kernelI23blocked_to_warp_stripedN15benchmark_utils11custom_typeIffEELj256ELj3ELj100EEvPKT0_PKjPS4_: ; @_Z6kernelI23blocked_to_warp_stripedN15benchmark_utils11custom_typeIffEELj256ELj3ELj100EEvPKT0_PKjPS4_
; %bb.0:
	s_load_b64 s[4:5], s[0:1], 0x0
	v_mul_u32_u24_e32 v1, 3, v0
	s_mov_b32 s3, 0
	s_mul_i32 s2, s15, 0x300
	v_lshrrev_b32_e32 v7, 5, v0
	s_lshl_b64 s[2:3], s[2:3], 3
	v_lshlrev_b32_e32 v5, 3, v1
	s_delay_alu instid0(VALU_DEP_2) | instskip(SKIP_1) | instid1(VALU_DEP_2)
	v_mul_u32_u24_e32 v8, 0x60, v7
	v_mbcnt_lo_u32_b32 v7, -1, 0
	v_lshlrev_b32_e32 v9, 3, v8
	s_delay_alu instid0(VALU_DEP_2) | instskip(NEXT) | instid1(VALU_DEP_2)
	v_or_b32_e32 v10, v7, v8
	v_mad_u32_u24 v8, v7, 24, v9
	s_waitcnt lgkmcnt(0)
	s_add_u32 s4, s4, s2
	s_addc_u32 s5, s5, s3
	v_lshlrev_b32_e32 v9, 3, v10
	s_clause 0x1
	global_load_b128 v[1:4], v5, s[4:5]
	global_load_b64 v[5:6], v5, s[4:5] offset:16
	s_movk_i32 s4, 0x64
.LBB80_1:                               ; =>This Inner Loop Header: Depth=1
	s_waitcnt vmcnt(1)
	ds_store_2addr_b64 v8, v[1:2], v[3:4] offset1:1
	s_waitcnt vmcnt(0)
	ds_store_b64 v8, v[5:6] offset:16
	; wave barrier
	ds_load_2addr_b64 v[1:4], v9 offset1:32
	ds_load_b64 v[5:6], v9 offset:512
	s_add_i32 s4, s4, -1
	s_waitcnt lgkmcnt(0)
	s_cmp_lg_u32 s4, 0
	s_barrier
	buffer_gl0_inv
	s_cbranch_scc1 .LBB80_1
; %bb.2:
	s_load_b64 s[0:1], s[0:1], 0x10
	v_and_b32_e32 v0, 0xe0, v0
	v_lshlrev_b32_e32 v7, 3, v7
	s_delay_alu instid0(VALU_DEP_2) | instskip(NEXT) | instid1(VALU_DEP_1)
	v_mul_u32_u24_e32 v0, 3, v0
	v_lshlrev_b32_e32 v0, 3, v0
	s_waitcnt lgkmcnt(0)
	s_add_u32 s0, s0, s2
	s_addc_u32 s1, s1, s3
	v_add_co_u32 v7, s0, s0, v7
	s_delay_alu instid0(VALU_DEP_1) | instskip(NEXT) | instid1(VALU_DEP_2)
	v_add_co_ci_u32_e64 v8, null, s1, 0, s0
	v_add_co_u32 v7, vcc_lo, v7, v0
	s_delay_alu instid0(VALU_DEP_2)
	v_add_co_ci_u32_e32 v8, vcc_lo, 0, v8, vcc_lo
	s_clause 0x2
	global_store_b64 v[7:8], v[1:2], off
	global_store_b64 v[7:8], v[3:4], off offset:256
	global_store_b64 v[7:8], v[5:6], off offset:512
	s_nop 0
	s_sendmsg sendmsg(MSG_DEALLOC_VGPRS)
	s_endpgm
	.section	.rodata,"a",@progbits
	.p2align	6, 0x0
	.amdhsa_kernel _Z6kernelI23blocked_to_warp_stripedN15benchmark_utils11custom_typeIffEELj256ELj3ELj100EEvPKT0_PKjPS4_
		.amdhsa_group_segment_fixed_size 6144
		.amdhsa_private_segment_fixed_size 0
		.amdhsa_kernarg_size 24
		.amdhsa_user_sgpr_count 15
		.amdhsa_user_sgpr_dispatch_ptr 0
		.amdhsa_user_sgpr_queue_ptr 0
		.amdhsa_user_sgpr_kernarg_segment_ptr 1
		.amdhsa_user_sgpr_dispatch_id 0
		.amdhsa_user_sgpr_private_segment_size 0
		.amdhsa_wavefront_size32 1
		.amdhsa_uses_dynamic_stack 0
		.amdhsa_enable_private_segment 0
		.amdhsa_system_sgpr_workgroup_id_x 1
		.amdhsa_system_sgpr_workgroup_id_y 0
		.amdhsa_system_sgpr_workgroup_id_z 0
		.amdhsa_system_sgpr_workgroup_info 0
		.amdhsa_system_vgpr_workitem_id 0
		.amdhsa_next_free_vgpr 11
		.amdhsa_next_free_sgpr 16
		.amdhsa_reserve_vcc 1
		.amdhsa_float_round_mode_32 0
		.amdhsa_float_round_mode_16_64 0
		.amdhsa_float_denorm_mode_32 3
		.amdhsa_float_denorm_mode_16_64 3
		.amdhsa_dx10_clamp 1
		.amdhsa_ieee_mode 1
		.amdhsa_fp16_overflow 0
		.amdhsa_workgroup_processor_mode 1
		.amdhsa_memory_ordered 1
		.amdhsa_forward_progress 0
		.amdhsa_shared_vgpr_count 0
		.amdhsa_exception_fp_ieee_invalid_op 0
		.amdhsa_exception_fp_denorm_src 0
		.amdhsa_exception_fp_ieee_div_zero 0
		.amdhsa_exception_fp_ieee_overflow 0
		.amdhsa_exception_fp_ieee_underflow 0
		.amdhsa_exception_fp_ieee_inexact 0
		.amdhsa_exception_int_div_zero 0
	.end_amdhsa_kernel
	.section	.text._Z6kernelI23blocked_to_warp_stripedN15benchmark_utils11custom_typeIffEELj256ELj3ELj100EEvPKT0_PKjPS4_,"axG",@progbits,_Z6kernelI23blocked_to_warp_stripedN15benchmark_utils11custom_typeIffEELj256ELj3ELj100EEvPKT0_PKjPS4_,comdat
.Lfunc_end80:
	.size	_Z6kernelI23blocked_to_warp_stripedN15benchmark_utils11custom_typeIffEELj256ELj3ELj100EEvPKT0_PKjPS4_, .Lfunc_end80-_Z6kernelI23blocked_to_warp_stripedN15benchmark_utils11custom_typeIffEELj256ELj3ELj100EEvPKT0_PKjPS4_
                                        ; -- End function
	.section	.AMDGPU.csdata,"",@progbits
; Kernel info:
; codeLenInByte = 304
; NumSgprs: 18
; NumVgprs: 11
; ScratchSize: 0
; MemoryBound: 0
; FloatMode: 240
; IeeeMode: 1
; LDSByteSize: 6144 bytes/workgroup (compile time only)
; SGPRBlocks: 2
; VGPRBlocks: 1
; NumSGPRsForWavesPerEU: 18
; NumVGPRsForWavesPerEU: 11
; Occupancy: 16
; WaveLimiterHint : 1
; COMPUTE_PGM_RSRC2:SCRATCH_EN: 0
; COMPUTE_PGM_RSRC2:USER_SGPR: 15
; COMPUTE_PGM_RSRC2:TRAP_HANDLER: 0
; COMPUTE_PGM_RSRC2:TGID_X_EN: 1
; COMPUTE_PGM_RSRC2:TGID_Y_EN: 0
; COMPUTE_PGM_RSRC2:TGID_Z_EN: 0
; COMPUTE_PGM_RSRC2:TIDIG_COMP_CNT: 0
	.section	.text._Z6kernelI23blocked_to_warp_stripedN15benchmark_utils11custom_typeIffEELj256ELj4ELj100EEvPKT0_PKjPS4_,"axG",@progbits,_Z6kernelI23blocked_to_warp_stripedN15benchmark_utils11custom_typeIffEELj256ELj4ELj100EEvPKT0_PKjPS4_,comdat
	.protected	_Z6kernelI23blocked_to_warp_stripedN15benchmark_utils11custom_typeIffEELj256ELj4ELj100EEvPKT0_PKjPS4_ ; -- Begin function _Z6kernelI23blocked_to_warp_stripedN15benchmark_utils11custom_typeIffEELj256ELj4ELj100EEvPKT0_PKjPS4_
	.globl	_Z6kernelI23blocked_to_warp_stripedN15benchmark_utils11custom_typeIffEELj256ELj4ELj100EEvPKT0_PKjPS4_
	.p2align	8
	.type	_Z6kernelI23blocked_to_warp_stripedN15benchmark_utils11custom_typeIffEELj256ELj4ELj100EEvPKT0_PKjPS4_,@function
_Z6kernelI23blocked_to_warp_stripedN15benchmark_utils11custom_typeIffEELj256ELj4ELj100EEvPKT0_PKjPS4_: ; @_Z6kernelI23blocked_to_warp_stripedN15benchmark_utils11custom_typeIffEELj256ELj4ELj100EEvPKT0_PKjPS4_
; %bb.0:
	s_load_b64 s[4:5], s[0:1], 0x0
	s_mov_b32 s3, 0
	s_lshl_b32 s2, s15, 10
	v_lshlrev_b32_e32 v1, 5, v0
	s_lshl_b64 s[2:3], s[2:3], 3
	v_mbcnt_lo_u32_b32 v9, -1, 0
	v_lshlrev_b32_e32 v10, 2, v0
	s_delay_alu instid0(VALU_DEP_2) | instskip(NEXT) | instid1(VALU_DEP_2)
	v_and_or_b32 v11, 0xe0, v0, v9
	v_and_b32_e32 v0, 0x380, v10
	s_delay_alu instid0(VALU_DEP_2) | instskip(NEXT) | instid1(VALU_DEP_2)
	v_and_b32_e32 v10, 0xf8, v11
	v_or_b32_e32 v12, 32, v0
	v_or_b32_e32 v13, 64, v0
	;; [unrolled: 1-line block ×4, first 2 shown]
	s_waitcnt lgkmcnt(0)
	s_add_u32 s4, s4, s2
	s_addc_u32 s5, s5, s3
	v_lshrrev_b32_e32 v16, 5, v0
	s_clause 0x1
	global_load_b128 v[5:8], v1, s[4:5]
	global_load_b128 v[1:4], v1, s[4:5] offset:16
	v_lshrrev_b32_e32 v12, 5, v12
	v_lshrrev_b32_e32 v13, 5, v13
	;; [unrolled: 1-line block ×3, first 2 shown]
	v_lshl_add_u32 v10, v11, 5, v10
	v_add_lshl_u32 v11, v16, v15, 3
	v_add_lshl_u32 v12, v12, v15, 3
	;; [unrolled: 1-line block ×4, first 2 shown]
	s_movk_i32 s4, 0x64
.LBB81_1:                               ; =>This Inner Loop Header: Depth=1
	s_waitcnt vmcnt(1)
	ds_store_2addr_b64 v10, v[5:6], v[7:8] offset1:1
	s_waitcnt vmcnt(0)
	ds_store_2addr_b64 v10, v[1:2], v[3:4] offset0:2 offset1:3
	; wave barrier
	ds_load_b64 v[5:6], v11
	ds_load_b64 v[7:8], v12 offset:256
	ds_load_b64 v[1:2], v13 offset:512
	;; [unrolled: 1-line block ×3, first 2 shown]
	s_add_i32 s4, s4, -1
	s_waitcnt lgkmcnt(0)
	s_cmp_lg_u32 s4, 0
	s_barrier
	buffer_gl0_inv
	s_cbranch_scc1 .LBB81_1
; %bb.2:
	s_load_b64 s[0:1], s[0:1], 0x10
	v_lshlrev_b32_e32 v9, 3, v9
	v_lshlrev_b32_e32 v0, 3, v0
	s_waitcnt lgkmcnt(0)
	s_add_u32 s0, s0, s2
	s_addc_u32 s1, s1, s3
	v_add_co_u32 v9, s0, s0, v9
	s_delay_alu instid0(VALU_DEP_1) | instskip(NEXT) | instid1(VALU_DEP_2)
	v_add_co_ci_u32_e64 v10, null, s1, 0, s0
	v_add_co_u32 v9, vcc_lo, v9, v0
	s_delay_alu instid0(VALU_DEP_2)
	v_add_co_ci_u32_e32 v10, vcc_lo, 0, v10, vcc_lo
	s_clause 0x3
	global_store_b64 v[9:10], v[5:6], off
	global_store_b64 v[9:10], v[7:8], off offset:256
	global_store_b64 v[9:10], v[1:2], off offset:512
	;; [unrolled: 1-line block ×3, first 2 shown]
	s_nop 0
	s_sendmsg sendmsg(MSG_DEALLOC_VGPRS)
	s_endpgm
	.section	.rodata,"a",@progbits
	.p2align	6, 0x0
	.amdhsa_kernel _Z6kernelI23blocked_to_warp_stripedN15benchmark_utils11custom_typeIffEELj256ELj4ELj100EEvPKT0_PKjPS4_
		.amdhsa_group_segment_fixed_size 8448
		.amdhsa_private_segment_fixed_size 0
		.amdhsa_kernarg_size 24
		.amdhsa_user_sgpr_count 15
		.amdhsa_user_sgpr_dispatch_ptr 0
		.amdhsa_user_sgpr_queue_ptr 0
		.amdhsa_user_sgpr_kernarg_segment_ptr 1
		.amdhsa_user_sgpr_dispatch_id 0
		.amdhsa_user_sgpr_private_segment_size 0
		.amdhsa_wavefront_size32 1
		.amdhsa_uses_dynamic_stack 0
		.amdhsa_enable_private_segment 0
		.amdhsa_system_sgpr_workgroup_id_x 1
		.amdhsa_system_sgpr_workgroup_id_y 0
		.amdhsa_system_sgpr_workgroup_id_z 0
		.amdhsa_system_sgpr_workgroup_info 0
		.amdhsa_system_vgpr_workitem_id 0
		.amdhsa_next_free_vgpr 17
		.amdhsa_next_free_sgpr 16
		.amdhsa_reserve_vcc 1
		.amdhsa_float_round_mode_32 0
		.amdhsa_float_round_mode_16_64 0
		.amdhsa_float_denorm_mode_32 3
		.amdhsa_float_denorm_mode_16_64 3
		.amdhsa_dx10_clamp 1
		.amdhsa_ieee_mode 1
		.amdhsa_fp16_overflow 0
		.amdhsa_workgroup_processor_mode 1
		.amdhsa_memory_ordered 1
		.amdhsa_forward_progress 0
		.amdhsa_shared_vgpr_count 0
		.amdhsa_exception_fp_ieee_invalid_op 0
		.amdhsa_exception_fp_denorm_src 0
		.amdhsa_exception_fp_ieee_div_zero 0
		.amdhsa_exception_fp_ieee_overflow 0
		.amdhsa_exception_fp_ieee_underflow 0
		.amdhsa_exception_fp_ieee_inexact 0
		.amdhsa_exception_int_div_zero 0
	.end_amdhsa_kernel
	.section	.text._Z6kernelI23blocked_to_warp_stripedN15benchmark_utils11custom_typeIffEELj256ELj4ELj100EEvPKT0_PKjPS4_,"axG",@progbits,_Z6kernelI23blocked_to_warp_stripedN15benchmark_utils11custom_typeIffEELj256ELj4ELj100EEvPKT0_PKjPS4_,comdat
.Lfunc_end81:
	.size	_Z6kernelI23blocked_to_warp_stripedN15benchmark_utils11custom_typeIffEELj256ELj4ELj100EEvPKT0_PKjPS4_, .Lfunc_end81-_Z6kernelI23blocked_to_warp_stripedN15benchmark_utils11custom_typeIffEELj256ELj4ELj100EEvPKT0_PKjPS4_
                                        ; -- End function
	.section	.AMDGPU.csdata,"",@progbits
; Kernel info:
; codeLenInByte = 380
; NumSgprs: 18
; NumVgprs: 17
; ScratchSize: 0
; MemoryBound: 0
; FloatMode: 240
; IeeeMode: 1
; LDSByteSize: 8448 bytes/workgroup (compile time only)
; SGPRBlocks: 2
; VGPRBlocks: 2
; NumSGPRsForWavesPerEU: 18
; NumVGPRsForWavesPerEU: 17
; Occupancy: 16
; WaveLimiterHint : 1
; COMPUTE_PGM_RSRC2:SCRATCH_EN: 0
; COMPUTE_PGM_RSRC2:USER_SGPR: 15
; COMPUTE_PGM_RSRC2:TRAP_HANDLER: 0
; COMPUTE_PGM_RSRC2:TGID_X_EN: 1
; COMPUTE_PGM_RSRC2:TGID_Y_EN: 0
; COMPUTE_PGM_RSRC2:TGID_Z_EN: 0
; COMPUTE_PGM_RSRC2:TIDIG_COMP_CNT: 0
	.section	.text._Z6kernelI23blocked_to_warp_stripedN15benchmark_utils11custom_typeIffEELj256ELj7ELj100EEvPKT0_PKjPS4_,"axG",@progbits,_Z6kernelI23blocked_to_warp_stripedN15benchmark_utils11custom_typeIffEELj256ELj7ELj100EEvPKT0_PKjPS4_,comdat
	.protected	_Z6kernelI23blocked_to_warp_stripedN15benchmark_utils11custom_typeIffEELj256ELj7ELj100EEvPKT0_PKjPS4_ ; -- Begin function _Z6kernelI23blocked_to_warp_stripedN15benchmark_utils11custom_typeIffEELj256ELj7ELj100EEvPKT0_PKjPS4_
	.globl	_Z6kernelI23blocked_to_warp_stripedN15benchmark_utils11custom_typeIffEELj256ELj7ELj100EEvPKT0_PKjPS4_
	.p2align	8
	.type	_Z6kernelI23blocked_to_warp_stripedN15benchmark_utils11custom_typeIffEELj256ELj7ELj100EEvPKT0_PKjPS4_,@function
_Z6kernelI23blocked_to_warp_stripedN15benchmark_utils11custom_typeIffEELj256ELj7ELj100EEvPKT0_PKjPS4_: ; @_Z6kernelI23blocked_to_warp_stripedN15benchmark_utils11custom_typeIffEELj256ELj7ELj100EEvPKT0_PKjPS4_
; %bb.0:
	s_load_b64 s[4:5], s[0:1], 0x0
	v_mul_u32_u24_e32 v1, 7, v0
	s_mov_b32 s3, 0
	s_mul_i32 s2, s15, 0x700
	v_lshrrev_b32_e32 v15, 5, v0
	s_lshl_b64 s[2:3], s[2:3], 3
	v_lshlrev_b32_e32 v13, 3, v1
	s_delay_alu instid0(VALU_DEP_2) | instskip(SKIP_1) | instid1(VALU_DEP_2)
	v_mul_u32_u24_e32 v16, 0xe0, v15
	v_mbcnt_lo_u32_b32 v15, -1, 0
	v_lshlrev_b32_e32 v17, 3, v16
	s_delay_alu instid0(VALU_DEP_2) | instskip(NEXT) | instid1(VALU_DEP_2)
	v_or_b32_e32 v18, v15, v16
	v_mad_u32_u24 v16, v15, 56, v17
	s_waitcnt lgkmcnt(0)
	s_add_u32 s4, s4, s2
	s_addc_u32 s5, s5, s3
	v_lshlrev_b32_e32 v17, 3, v18
	s_clause 0x3
	global_load_b128 v[1:4], v13, s[4:5]
	global_load_b128 v[5:8], v13, s[4:5] offset:16
	global_load_b128 v[9:12], v13, s[4:5] offset:32
	global_load_b64 v[13:14], v13, s[4:5] offset:48
	s_movk_i32 s4, 0x64
	.p2align	6
.LBB82_1:                               ; =>This Inner Loop Header: Depth=1
	s_waitcnt vmcnt(3)
	ds_store_2addr_b64 v16, v[1:2], v[3:4] offset1:1
	s_waitcnt vmcnt(2)
	ds_store_2addr_b64 v16, v[5:6], v[7:8] offset0:2 offset1:3
	s_waitcnt vmcnt(1)
	ds_store_2addr_b64 v16, v[9:10], v[11:12] offset0:4 offset1:5
	s_waitcnt vmcnt(0)
	ds_store_b64 v16, v[13:14] offset:48
	; wave barrier
	ds_load_2addr_b64 v[1:4], v17 offset1:32
	ds_load_2addr_b64 v[5:8], v17 offset0:64 offset1:96
	ds_load_2addr_b64 v[9:12], v17 offset0:128 offset1:160
	ds_load_b64 v[13:14], v17 offset:1536
	s_add_i32 s4, s4, -1
	s_waitcnt lgkmcnt(0)
	s_cmp_lg_u32 s4, 0
	s_barrier
	buffer_gl0_inv
	s_cbranch_scc1 .LBB82_1
; %bb.2:
	s_load_b64 s[0:1], s[0:1], 0x10
	v_and_b32_e32 v0, 0xe0, v0
	v_lshlrev_b32_e32 v15, 3, v15
	s_delay_alu instid0(VALU_DEP_2) | instskip(NEXT) | instid1(VALU_DEP_1)
	v_mul_u32_u24_e32 v0, 7, v0
	v_lshlrev_b32_e32 v0, 3, v0
	s_waitcnt lgkmcnt(0)
	s_add_u32 s0, s0, s2
	s_addc_u32 s1, s1, s3
	v_add_co_u32 v15, s0, s0, v15
	s_delay_alu instid0(VALU_DEP_1) | instskip(NEXT) | instid1(VALU_DEP_2)
	v_add_co_ci_u32_e64 v16, null, s1, 0, s0
	v_add_co_u32 v15, vcc_lo, v15, v0
	s_delay_alu instid0(VALU_DEP_2)
	v_add_co_ci_u32_e32 v16, vcc_lo, 0, v16, vcc_lo
	s_clause 0x6
	global_store_b64 v[15:16], v[1:2], off
	global_store_b64 v[15:16], v[3:4], off offset:256
	global_store_b64 v[15:16], v[5:6], off offset:512
	;; [unrolled: 1-line block ×6, first 2 shown]
	s_nop 0
	s_sendmsg sendmsg(MSG_DEALLOC_VGPRS)
	s_endpgm
	.section	.rodata,"a",@progbits
	.p2align	6, 0x0
	.amdhsa_kernel _Z6kernelI23blocked_to_warp_stripedN15benchmark_utils11custom_typeIffEELj256ELj7ELj100EEvPKT0_PKjPS4_
		.amdhsa_group_segment_fixed_size 14336
		.amdhsa_private_segment_fixed_size 0
		.amdhsa_kernarg_size 24
		.amdhsa_user_sgpr_count 15
		.amdhsa_user_sgpr_dispatch_ptr 0
		.amdhsa_user_sgpr_queue_ptr 0
		.amdhsa_user_sgpr_kernarg_segment_ptr 1
		.amdhsa_user_sgpr_dispatch_id 0
		.amdhsa_user_sgpr_private_segment_size 0
		.amdhsa_wavefront_size32 1
		.amdhsa_uses_dynamic_stack 0
		.amdhsa_enable_private_segment 0
		.amdhsa_system_sgpr_workgroup_id_x 1
		.amdhsa_system_sgpr_workgroup_id_y 0
		.amdhsa_system_sgpr_workgroup_id_z 0
		.amdhsa_system_sgpr_workgroup_info 0
		.amdhsa_system_vgpr_workitem_id 0
		.amdhsa_next_free_vgpr 19
		.amdhsa_next_free_sgpr 16
		.amdhsa_reserve_vcc 1
		.amdhsa_float_round_mode_32 0
		.amdhsa_float_round_mode_16_64 0
		.amdhsa_float_denorm_mode_32 3
		.amdhsa_float_denorm_mode_16_64 3
		.amdhsa_dx10_clamp 1
		.amdhsa_ieee_mode 1
		.amdhsa_fp16_overflow 0
		.amdhsa_workgroup_processor_mode 1
		.amdhsa_memory_ordered 1
		.amdhsa_forward_progress 0
		.amdhsa_shared_vgpr_count 0
		.amdhsa_exception_fp_ieee_invalid_op 0
		.amdhsa_exception_fp_denorm_src 0
		.amdhsa_exception_fp_ieee_div_zero 0
		.amdhsa_exception_fp_ieee_overflow 0
		.amdhsa_exception_fp_ieee_underflow 0
		.amdhsa_exception_fp_ieee_inexact 0
		.amdhsa_exception_int_div_zero 0
	.end_amdhsa_kernel
	.section	.text._Z6kernelI23blocked_to_warp_stripedN15benchmark_utils11custom_typeIffEELj256ELj7ELj100EEvPKT0_PKjPS4_,"axG",@progbits,_Z6kernelI23blocked_to_warp_stripedN15benchmark_utils11custom_typeIffEELj256ELj7ELj100EEvPKT0_PKjPS4_,comdat
.Lfunc_end82:
	.size	_Z6kernelI23blocked_to_warp_stripedN15benchmark_utils11custom_typeIffEELj256ELj7ELj100EEvPKT0_PKjPS4_, .Lfunc_end82-_Z6kernelI23blocked_to_warp_stripedN15benchmark_utils11custom_typeIffEELj256ELj7ELj100EEvPKT0_PKjPS4_
                                        ; -- End function
	.section	.AMDGPU.csdata,"",@progbits
; Kernel info:
; codeLenInByte = 392
; NumSgprs: 18
; NumVgprs: 19
; ScratchSize: 0
; MemoryBound: 0
; FloatMode: 240
; IeeeMode: 1
; LDSByteSize: 14336 bytes/workgroup (compile time only)
; SGPRBlocks: 2
; VGPRBlocks: 2
; NumSGPRsForWavesPerEU: 18
; NumVGPRsForWavesPerEU: 19
; Occupancy: 16
; WaveLimiterHint : 1
; COMPUTE_PGM_RSRC2:SCRATCH_EN: 0
; COMPUTE_PGM_RSRC2:USER_SGPR: 15
; COMPUTE_PGM_RSRC2:TRAP_HANDLER: 0
; COMPUTE_PGM_RSRC2:TGID_X_EN: 1
; COMPUTE_PGM_RSRC2:TGID_Y_EN: 0
; COMPUTE_PGM_RSRC2:TGID_Z_EN: 0
; COMPUTE_PGM_RSRC2:TIDIG_COMP_CNT: 0
	.section	.text._Z6kernelI23blocked_to_warp_stripedN15benchmark_utils11custom_typeIffEELj256ELj8ELj100EEvPKT0_PKjPS4_,"axG",@progbits,_Z6kernelI23blocked_to_warp_stripedN15benchmark_utils11custom_typeIffEELj256ELj8ELj100EEvPKT0_PKjPS4_,comdat
	.protected	_Z6kernelI23blocked_to_warp_stripedN15benchmark_utils11custom_typeIffEELj256ELj8ELj100EEvPKT0_PKjPS4_ ; -- Begin function _Z6kernelI23blocked_to_warp_stripedN15benchmark_utils11custom_typeIffEELj256ELj8ELj100EEvPKT0_PKjPS4_
	.globl	_Z6kernelI23blocked_to_warp_stripedN15benchmark_utils11custom_typeIffEELj256ELj8ELj100EEvPKT0_PKjPS4_
	.p2align	8
	.type	_Z6kernelI23blocked_to_warp_stripedN15benchmark_utils11custom_typeIffEELj256ELj8ELj100EEvPKT0_PKjPS4_,@function
_Z6kernelI23blocked_to_warp_stripedN15benchmark_utils11custom_typeIffEELj256ELj8ELj100EEvPKT0_PKjPS4_: ; @_Z6kernelI23blocked_to_warp_stripedN15benchmark_utils11custom_typeIffEELj256ELj8ELj100EEvPKT0_PKjPS4_
; %bb.0:
	s_load_b64 s[4:5], s[0:1], 0x0
	s_mov_b32 s3, 0
	s_lshl_b32 s2, s15, 11
	v_lshlrev_b32_e32 v1, 6, v0
	s_lshl_b64 s[2:3], s[2:3], 3
	v_mbcnt_lo_u32_b32 v17, -1, 0
	v_lshlrev_b32_e32 v18, 3, v0
	s_delay_alu instid0(VALU_DEP_2) | instskip(NEXT) | instid1(VALU_DEP_2)
	v_and_or_b32 v19, 0xe0, v0, v17
	v_and_b32_e32 v0, 0x700, v18
	s_delay_alu instid0(VALU_DEP_2) | instskip(NEXT) | instid1(VALU_DEP_2)
	v_lshlrev_b32_e32 v18, 1, v19
	v_or_b32_e32 v26, v17, v0
	v_lshrrev_b32_e32 v22, 5, v0
	v_or_b32_e32 v20, 32, v0
	v_or_b32_e32 v21, 64, v0
	s_waitcnt lgkmcnt(0)
	s_add_u32 s4, s4, s2
	s_addc_u32 s5, s5, s3
	v_and_b32_e32 v18, 0x1f8, v18
	s_clause 0x3
	global_load_b128 v[13:16], v1, s[4:5]
	global_load_b128 v[9:12], v1, s[4:5] offset:16
	global_load_b128 v[5:8], v1, s[4:5] offset:32
	;; [unrolled: 1-line block ×3, first 2 shown]
	v_or_b32_e32 v23, 0x80, v0
	v_or_b32_e32 v24, 0xa0, v0
	;; [unrolled: 1-line block ×3, first 2 shown]
	v_lshl_add_u32 v18, v19, 6, v18
	v_add_lshl_u32 v19, v22, v26, 3
	v_or_b32_e32 v22, 0x60, v0
	v_or_b32_e32 v27, 0xe0, v0
	v_lshrrev_b32_e32 v20, 5, v20
	v_lshrrev_b32_e32 v21, 5, v21
	;; [unrolled: 1-line block ×7, first 2 shown]
	v_add_lshl_u32 v20, v20, v26, 3
	v_add_lshl_u32 v21, v21, v26, 3
	;; [unrolled: 1-line block ×7, first 2 shown]
	s_movk_i32 s4, 0x64
	.p2align	6
.LBB83_1:                               ; =>This Inner Loop Header: Depth=1
	s_waitcnt vmcnt(3)
	ds_store_2addr_b64 v18, v[13:14], v[15:16] offset1:1
	s_waitcnt vmcnt(2)
	ds_store_2addr_b64 v18, v[9:10], v[11:12] offset0:2 offset1:3
	s_waitcnt vmcnt(1)
	ds_store_2addr_b64 v18, v[5:6], v[7:8] offset0:4 offset1:5
	;; [unrolled: 2-line block ×3, first 2 shown]
	; wave barrier
	ds_load_b64 v[13:14], v19
	ds_load_b64 v[15:16], v20 offset:256
	ds_load_b64 v[9:10], v21 offset:512
	;; [unrolled: 1-line block ×7, first 2 shown]
	s_add_i32 s4, s4, -1
	s_waitcnt lgkmcnt(0)
	s_cmp_lg_u32 s4, 0
	s_barrier
	buffer_gl0_inv
	s_cbranch_scc1 .LBB83_1
; %bb.2:
	s_load_b64 s[0:1], s[0:1], 0x10
	v_lshlrev_b32_e32 v17, 3, v17
	v_lshlrev_b32_e32 v0, 3, v0
	s_waitcnt lgkmcnt(0)
	s_add_u32 s0, s0, s2
	s_addc_u32 s1, s1, s3
	v_add_co_u32 v17, s0, s0, v17
	s_delay_alu instid0(VALU_DEP_1) | instskip(NEXT) | instid1(VALU_DEP_2)
	v_add_co_ci_u32_e64 v18, null, s1, 0, s0
	v_add_co_u32 v17, vcc_lo, v17, v0
	s_delay_alu instid0(VALU_DEP_2)
	v_add_co_ci_u32_e32 v18, vcc_lo, 0, v18, vcc_lo
	s_clause 0x7
	global_store_b64 v[17:18], v[13:14], off
	global_store_b64 v[17:18], v[15:16], off offset:256
	global_store_b64 v[17:18], v[9:10], off offset:512
	;; [unrolled: 1-line block ×7, first 2 shown]
	s_nop 0
	s_sendmsg sendmsg(MSG_DEALLOC_VGPRS)
	s_endpgm
	.section	.rodata,"a",@progbits
	.p2align	6, 0x0
	.amdhsa_kernel _Z6kernelI23blocked_to_warp_stripedN15benchmark_utils11custom_typeIffEELj256ELj8ELj100EEvPKT0_PKjPS4_
		.amdhsa_group_segment_fixed_size 16896
		.amdhsa_private_segment_fixed_size 0
		.amdhsa_kernarg_size 24
		.amdhsa_user_sgpr_count 15
		.amdhsa_user_sgpr_dispatch_ptr 0
		.amdhsa_user_sgpr_queue_ptr 0
		.amdhsa_user_sgpr_kernarg_segment_ptr 1
		.amdhsa_user_sgpr_dispatch_id 0
		.amdhsa_user_sgpr_private_segment_size 0
		.amdhsa_wavefront_size32 1
		.amdhsa_uses_dynamic_stack 0
		.amdhsa_enable_private_segment 0
		.amdhsa_system_sgpr_workgroup_id_x 1
		.amdhsa_system_sgpr_workgroup_id_y 0
		.amdhsa_system_sgpr_workgroup_id_z 0
		.amdhsa_system_sgpr_workgroup_info 0
		.amdhsa_system_vgpr_workitem_id 0
		.amdhsa_next_free_vgpr 28
		.amdhsa_next_free_sgpr 16
		.amdhsa_reserve_vcc 1
		.amdhsa_float_round_mode_32 0
		.amdhsa_float_round_mode_16_64 0
		.amdhsa_float_denorm_mode_32 3
		.amdhsa_float_denorm_mode_16_64 3
		.amdhsa_dx10_clamp 1
		.amdhsa_ieee_mode 1
		.amdhsa_fp16_overflow 0
		.amdhsa_workgroup_processor_mode 1
		.amdhsa_memory_ordered 1
		.amdhsa_forward_progress 0
		.amdhsa_shared_vgpr_count 0
		.amdhsa_exception_fp_ieee_invalid_op 0
		.amdhsa_exception_fp_denorm_src 0
		.amdhsa_exception_fp_ieee_div_zero 0
		.amdhsa_exception_fp_ieee_overflow 0
		.amdhsa_exception_fp_ieee_underflow 0
		.amdhsa_exception_fp_ieee_inexact 0
		.amdhsa_exception_int_div_zero 0
	.end_amdhsa_kernel
	.section	.text._Z6kernelI23blocked_to_warp_stripedN15benchmark_utils11custom_typeIffEELj256ELj8ELj100EEvPKT0_PKjPS4_,"axG",@progbits,_Z6kernelI23blocked_to_warp_stripedN15benchmark_utils11custom_typeIffEELj256ELj8ELj100EEvPKT0_PKjPS4_,comdat
.Lfunc_end83:
	.size	_Z6kernelI23blocked_to_warp_stripedN15benchmark_utils11custom_typeIffEELj256ELj8ELj100EEvPKT0_PKjPS4_, .Lfunc_end83-_Z6kernelI23blocked_to_warp_stripedN15benchmark_utils11custom_typeIffEELj256ELj8ELj100EEvPKT0_PKjPS4_
                                        ; -- End function
	.section	.AMDGPU.csdata,"",@progbits
; Kernel info:
; codeLenInByte = 568
; NumSgprs: 18
; NumVgprs: 28
; ScratchSize: 0
; MemoryBound: 0
; FloatMode: 240
; IeeeMode: 1
; LDSByteSize: 16896 bytes/workgroup (compile time only)
; SGPRBlocks: 2
; VGPRBlocks: 3
; NumSGPRsForWavesPerEU: 18
; NumVGPRsForWavesPerEU: 28
; Occupancy: 14
; WaveLimiterHint : 1
; COMPUTE_PGM_RSRC2:SCRATCH_EN: 0
; COMPUTE_PGM_RSRC2:USER_SGPR: 15
; COMPUTE_PGM_RSRC2:TRAP_HANDLER: 0
; COMPUTE_PGM_RSRC2:TGID_X_EN: 1
; COMPUTE_PGM_RSRC2:TGID_Y_EN: 0
; COMPUTE_PGM_RSRC2:TGID_Z_EN: 0
; COMPUTE_PGM_RSRC2:TIDIG_COMP_CNT: 0
	.section	.text._Z6kernelI23blocked_to_warp_stripedN15benchmark_utils11custom_typeIddEELj256ELj1ELj100EEvPKT0_PKjPS4_,"axG",@progbits,_Z6kernelI23blocked_to_warp_stripedN15benchmark_utils11custom_typeIddEELj256ELj1ELj100EEvPKT0_PKjPS4_,comdat
	.protected	_Z6kernelI23blocked_to_warp_stripedN15benchmark_utils11custom_typeIddEELj256ELj1ELj100EEvPKT0_PKjPS4_ ; -- Begin function _Z6kernelI23blocked_to_warp_stripedN15benchmark_utils11custom_typeIddEELj256ELj1ELj100EEvPKT0_PKjPS4_
	.globl	_Z6kernelI23blocked_to_warp_stripedN15benchmark_utils11custom_typeIddEELj256ELj1ELj100EEvPKT0_PKjPS4_
	.p2align	8
	.type	_Z6kernelI23blocked_to_warp_stripedN15benchmark_utils11custom_typeIddEELj256ELj1ELj100EEvPKT0_PKjPS4_,@function
_Z6kernelI23blocked_to_warp_stripedN15benchmark_utils11custom_typeIddEELj256ELj1ELj100EEvPKT0_PKjPS4_: ; @_Z6kernelI23blocked_to_warp_stripedN15benchmark_utils11custom_typeIddEELj256ELj1ELj100EEvPKT0_PKjPS4_
; %bb.0:
	s_load_b64 s[4:5], s[0:1], 0x0
	s_lshl_b32 s2, s15, 8
	s_mov_b32 s3, 0
	v_lshlrev_b32_e32 v1, 4, v0
	s_lshl_b64 s[2:3], s[2:3], 4
	v_mbcnt_lo_u32_b32 v5, -1, 0
	v_and_b32_e32 v0, 0xe0, v0
	s_delay_alu instid0(VALU_DEP_1) | instskip(NEXT) | instid1(VALU_DEP_1)
	v_or_b32_e32 v6, v5, v0
	v_lshlrev_b32_e32 v6, 4, v6
	s_waitcnt lgkmcnt(0)
	s_add_u32 s4, s4, s2
	s_addc_u32 s5, s5, s3
	global_load_b128 v[1:4], v1, s[4:5]
	s_movk_i32 s4, 0x64
.LBB84_1:                               ; =>This Inner Loop Header: Depth=1
	s_waitcnt vmcnt(0)
	ds_store_b128 v6, v[1:4]
	; wave barrier
	ds_load_b128 v[1:4], v6
	s_add_i32 s4, s4, -1
	s_waitcnt lgkmcnt(0)
	s_cmp_lg_u32 s4, 0
	s_barrier
	buffer_gl0_inv
	s_cbranch_scc1 .LBB84_1
; %bb.2:
	s_load_b64 s[0:1], s[0:1], 0x10
	v_lshlrev_b32_e32 v5, 4, v5
	v_lshlrev_b32_e32 v0, 4, v0
	s_waitcnt lgkmcnt(0)
	s_add_u32 s0, s0, s2
	s_addc_u32 s1, s1, s3
	v_add_co_u32 v5, s0, s0, v5
	s_delay_alu instid0(VALU_DEP_1) | instskip(NEXT) | instid1(VALU_DEP_2)
	v_add_co_ci_u32_e64 v6, null, s1, 0, s0
	v_add_co_u32 v5, vcc_lo, v5, v0
	s_delay_alu instid0(VALU_DEP_2)
	v_add_co_ci_u32_e32 v6, vcc_lo, 0, v6, vcc_lo
	global_store_b128 v[5:6], v[1:4], off
	s_nop 0
	s_sendmsg sendmsg(MSG_DEALLOC_VGPRS)
	s_endpgm
	.section	.rodata,"a",@progbits
	.p2align	6, 0x0
	.amdhsa_kernel _Z6kernelI23blocked_to_warp_stripedN15benchmark_utils11custom_typeIddEELj256ELj1ELj100EEvPKT0_PKjPS4_
		.amdhsa_group_segment_fixed_size 4096
		.amdhsa_private_segment_fixed_size 0
		.amdhsa_kernarg_size 24
		.amdhsa_user_sgpr_count 15
		.amdhsa_user_sgpr_dispatch_ptr 0
		.amdhsa_user_sgpr_queue_ptr 0
		.amdhsa_user_sgpr_kernarg_segment_ptr 1
		.amdhsa_user_sgpr_dispatch_id 0
		.amdhsa_user_sgpr_private_segment_size 0
		.amdhsa_wavefront_size32 1
		.amdhsa_uses_dynamic_stack 0
		.amdhsa_enable_private_segment 0
		.amdhsa_system_sgpr_workgroup_id_x 1
		.amdhsa_system_sgpr_workgroup_id_y 0
		.amdhsa_system_sgpr_workgroup_id_z 0
		.amdhsa_system_sgpr_workgroup_info 0
		.amdhsa_system_vgpr_workitem_id 0
		.amdhsa_next_free_vgpr 7
		.amdhsa_next_free_sgpr 16
		.amdhsa_reserve_vcc 1
		.amdhsa_float_round_mode_32 0
		.amdhsa_float_round_mode_16_64 0
		.amdhsa_float_denorm_mode_32 3
		.amdhsa_float_denorm_mode_16_64 3
		.amdhsa_dx10_clamp 1
		.amdhsa_ieee_mode 1
		.amdhsa_fp16_overflow 0
		.amdhsa_workgroup_processor_mode 1
		.amdhsa_memory_ordered 1
		.amdhsa_forward_progress 0
		.amdhsa_shared_vgpr_count 0
		.amdhsa_exception_fp_ieee_invalid_op 0
		.amdhsa_exception_fp_denorm_src 0
		.amdhsa_exception_fp_ieee_div_zero 0
		.amdhsa_exception_fp_ieee_overflow 0
		.amdhsa_exception_fp_ieee_underflow 0
		.amdhsa_exception_fp_ieee_inexact 0
		.amdhsa_exception_int_div_zero 0
	.end_amdhsa_kernel
	.section	.text._Z6kernelI23blocked_to_warp_stripedN15benchmark_utils11custom_typeIddEELj256ELj1ELj100EEvPKT0_PKjPS4_,"axG",@progbits,_Z6kernelI23blocked_to_warp_stripedN15benchmark_utils11custom_typeIddEELj256ELj1ELj100EEvPKT0_PKjPS4_,comdat
.Lfunc_end84:
	.size	_Z6kernelI23blocked_to_warp_stripedN15benchmark_utils11custom_typeIddEELj256ELj1ELj100EEvPKT0_PKjPS4_, .Lfunc_end84-_Z6kernelI23blocked_to_warp_stripedN15benchmark_utils11custom_typeIddEELj256ELj1ELj100EEvPKT0_PKjPS4_
                                        ; -- End function
	.section	.AMDGPU.csdata,"",@progbits
; Kernel info:
; codeLenInByte = 208
; NumSgprs: 18
; NumVgprs: 7
; ScratchSize: 0
; MemoryBound: 0
; FloatMode: 240
; IeeeMode: 1
; LDSByteSize: 4096 bytes/workgroup (compile time only)
; SGPRBlocks: 2
; VGPRBlocks: 0
; NumSGPRsForWavesPerEU: 18
; NumVGPRsForWavesPerEU: 7
; Occupancy: 16
; WaveLimiterHint : 0
; COMPUTE_PGM_RSRC2:SCRATCH_EN: 0
; COMPUTE_PGM_RSRC2:USER_SGPR: 15
; COMPUTE_PGM_RSRC2:TRAP_HANDLER: 0
; COMPUTE_PGM_RSRC2:TGID_X_EN: 1
; COMPUTE_PGM_RSRC2:TGID_Y_EN: 0
; COMPUTE_PGM_RSRC2:TGID_Z_EN: 0
; COMPUTE_PGM_RSRC2:TIDIG_COMP_CNT: 0
	.section	.text._Z6kernelI23blocked_to_warp_stripedN15benchmark_utils11custom_typeIddEELj256ELj2ELj100EEvPKT0_PKjPS4_,"axG",@progbits,_Z6kernelI23blocked_to_warp_stripedN15benchmark_utils11custom_typeIddEELj256ELj2ELj100EEvPKT0_PKjPS4_,comdat
	.protected	_Z6kernelI23blocked_to_warp_stripedN15benchmark_utils11custom_typeIddEELj256ELj2ELj100EEvPKT0_PKjPS4_ ; -- Begin function _Z6kernelI23blocked_to_warp_stripedN15benchmark_utils11custom_typeIddEELj256ELj2ELj100EEvPKT0_PKjPS4_
	.globl	_Z6kernelI23blocked_to_warp_stripedN15benchmark_utils11custom_typeIddEELj256ELj2ELj100EEvPKT0_PKjPS4_
	.p2align	8
	.type	_Z6kernelI23blocked_to_warp_stripedN15benchmark_utils11custom_typeIddEELj256ELj2ELj100EEvPKT0_PKjPS4_,@function
_Z6kernelI23blocked_to_warp_stripedN15benchmark_utils11custom_typeIddEELj256ELj2ELj100EEvPKT0_PKjPS4_: ; @_Z6kernelI23blocked_to_warp_stripedN15benchmark_utils11custom_typeIddEELj256ELj2ELj100EEvPKT0_PKjPS4_
; %bb.0:
	s_load_b64 s[4:5], s[0:1], 0x0
	s_mov_b32 s3, 0
	s_lshl_b32 s2, s15, 9
	v_lshlrev_b32_e32 v5, 5, v0
	s_lshl_b64 s[2:3], s[2:3], 4
	v_lshlrev_b32_e32 v10, 1, v0
	v_mbcnt_lo_u32_b32 v9, -1, 0
	s_delay_alu instid0(VALU_DEP_2) | instskip(NEXT) | instid1(VALU_DEP_2)
	v_and_b32_e32 v10, 0x1c0, v10
	v_and_or_b32 v0, 0xe0, v0, v9
	s_delay_alu instid0(VALU_DEP_2) | instskip(NEXT) | instid1(VALU_DEP_2)
	v_or_b32_e32 v11, 32, v10
	v_and_b32_e32 v12, 0xf0, v0
	v_or_b32_e32 v13, v9, v10
	v_lshrrev_b32_e32 v14, 5, v10
	s_delay_alu instid0(VALU_DEP_4)
	v_lshrrev_b32_e32 v15, 5, v11
	s_waitcnt lgkmcnt(0)
	s_add_u32 s4, s4, s2
	s_addc_u32 s5, s5, s3
	s_clause 0x1
	global_load_b128 v[1:4], v5, s[4:5] offset:16
	global_load_b128 v[5:8], v5, s[4:5]
	v_lshl_add_u32 v0, v0, 5, v12
	v_add_lshl_u32 v11, v14, v13, 4
	v_add_lshl_u32 v12, v15, v13, 4
	s_movk_i32 s4, 0x64
.LBB85_1:                               ; =>This Inner Loop Header: Depth=1
	s_waitcnt vmcnt(0)
	ds_store_b128 v0, v[5:8]
	ds_store_b128 v0, v[1:4] offset:16
	; wave barrier
	ds_load_b128 v[5:8], v11
	ds_load_b128 v[1:4], v12 offset:512
	s_add_i32 s4, s4, -1
	s_waitcnt lgkmcnt(0)
	s_cmp_lg_u32 s4, 0
	s_barrier
	buffer_gl0_inv
	s_cbranch_scc1 .LBB85_1
; %bb.2:
	s_load_b64 s[0:1], s[0:1], 0x10
	v_lshlrev_b32_e32 v0, 4, v9
	v_lshlrev_b32_e32 v9, 4, v10
	s_waitcnt lgkmcnt(0)
	s_add_u32 s0, s0, s2
	s_addc_u32 s1, s1, s3
	v_add_co_u32 v0, s0, s0, v0
	s_delay_alu instid0(VALU_DEP_1) | instskip(NEXT) | instid1(VALU_DEP_2)
	v_add_co_ci_u32_e64 v10, null, s1, 0, s0
	v_add_co_u32 v9, vcc_lo, v0, v9
	s_delay_alu instid0(VALU_DEP_2)
	v_add_co_ci_u32_e32 v10, vcc_lo, 0, v10, vcc_lo
	s_clause 0x1
	global_store_b128 v[9:10], v[5:8], off
	global_store_b128 v[9:10], v[1:4], off offset:512
	s_nop 0
	s_sendmsg sendmsg(MSG_DEALLOC_VGPRS)
	s_endpgm
	.section	.rodata,"a",@progbits
	.p2align	6, 0x0
	.amdhsa_kernel _Z6kernelI23blocked_to_warp_stripedN15benchmark_utils11custom_typeIddEELj256ELj2ELj100EEvPKT0_PKjPS4_
		.amdhsa_group_segment_fixed_size 8448
		.amdhsa_private_segment_fixed_size 0
		.amdhsa_kernarg_size 24
		.amdhsa_user_sgpr_count 15
		.amdhsa_user_sgpr_dispatch_ptr 0
		.amdhsa_user_sgpr_queue_ptr 0
		.amdhsa_user_sgpr_kernarg_segment_ptr 1
		.amdhsa_user_sgpr_dispatch_id 0
		.amdhsa_user_sgpr_private_segment_size 0
		.amdhsa_wavefront_size32 1
		.amdhsa_uses_dynamic_stack 0
		.amdhsa_enable_private_segment 0
		.amdhsa_system_sgpr_workgroup_id_x 1
		.amdhsa_system_sgpr_workgroup_id_y 0
		.amdhsa_system_sgpr_workgroup_id_z 0
		.amdhsa_system_sgpr_workgroup_info 0
		.amdhsa_system_vgpr_workitem_id 0
		.amdhsa_next_free_vgpr 16
		.amdhsa_next_free_sgpr 16
		.amdhsa_reserve_vcc 1
		.amdhsa_float_round_mode_32 0
		.amdhsa_float_round_mode_16_64 0
		.amdhsa_float_denorm_mode_32 3
		.amdhsa_float_denorm_mode_16_64 3
		.amdhsa_dx10_clamp 1
		.amdhsa_ieee_mode 1
		.amdhsa_fp16_overflow 0
		.amdhsa_workgroup_processor_mode 1
		.amdhsa_memory_ordered 1
		.amdhsa_forward_progress 0
		.amdhsa_shared_vgpr_count 0
		.amdhsa_exception_fp_ieee_invalid_op 0
		.amdhsa_exception_fp_denorm_src 0
		.amdhsa_exception_fp_ieee_div_zero 0
		.amdhsa_exception_fp_ieee_overflow 0
		.amdhsa_exception_fp_ieee_underflow 0
		.amdhsa_exception_fp_ieee_inexact 0
		.amdhsa_exception_int_div_zero 0
	.end_amdhsa_kernel
	.section	.text._Z6kernelI23blocked_to_warp_stripedN15benchmark_utils11custom_typeIddEELj256ELj2ELj100EEvPKT0_PKjPS4_,"axG",@progbits,_Z6kernelI23blocked_to_warp_stripedN15benchmark_utils11custom_typeIddEELj256ELj2ELj100EEvPKT0_PKjPS4_,comdat
.Lfunc_end85:
	.size	_Z6kernelI23blocked_to_warp_stripedN15benchmark_utils11custom_typeIddEELj256ELj2ELj100EEvPKT0_PKjPS4_, .Lfunc_end85-_Z6kernelI23blocked_to_warp_stripedN15benchmark_utils11custom_typeIddEELj256ELj2ELj100EEvPKT0_PKjPS4_
                                        ; -- End function
	.section	.AMDGPU.csdata,"",@progbits
; Kernel info:
; codeLenInByte = 312
; NumSgprs: 18
; NumVgprs: 16
; ScratchSize: 0
; MemoryBound: 0
; FloatMode: 240
; IeeeMode: 1
; LDSByteSize: 8448 bytes/workgroup (compile time only)
; SGPRBlocks: 2
; VGPRBlocks: 1
; NumSGPRsForWavesPerEU: 18
; NumVGPRsForWavesPerEU: 16
; Occupancy: 16
; WaveLimiterHint : 1
; COMPUTE_PGM_RSRC2:SCRATCH_EN: 0
; COMPUTE_PGM_RSRC2:USER_SGPR: 15
; COMPUTE_PGM_RSRC2:TRAP_HANDLER: 0
; COMPUTE_PGM_RSRC2:TGID_X_EN: 1
; COMPUTE_PGM_RSRC2:TGID_Y_EN: 0
; COMPUTE_PGM_RSRC2:TGID_Z_EN: 0
; COMPUTE_PGM_RSRC2:TIDIG_COMP_CNT: 0
	.section	.text._Z6kernelI23blocked_to_warp_stripedN15benchmark_utils11custom_typeIddEELj256ELj3ELj100EEvPKT0_PKjPS4_,"axG",@progbits,_Z6kernelI23blocked_to_warp_stripedN15benchmark_utils11custom_typeIddEELj256ELj3ELj100EEvPKT0_PKjPS4_,comdat
	.protected	_Z6kernelI23blocked_to_warp_stripedN15benchmark_utils11custom_typeIddEELj256ELj3ELj100EEvPKT0_PKjPS4_ ; -- Begin function _Z6kernelI23blocked_to_warp_stripedN15benchmark_utils11custom_typeIddEELj256ELj3ELj100EEvPKT0_PKjPS4_
	.globl	_Z6kernelI23blocked_to_warp_stripedN15benchmark_utils11custom_typeIddEELj256ELj3ELj100EEvPKT0_PKjPS4_
	.p2align	8
	.type	_Z6kernelI23blocked_to_warp_stripedN15benchmark_utils11custom_typeIddEELj256ELj3ELj100EEvPKT0_PKjPS4_,@function
_Z6kernelI23blocked_to_warp_stripedN15benchmark_utils11custom_typeIddEELj256ELj3ELj100EEvPKT0_PKjPS4_: ; @_Z6kernelI23blocked_to_warp_stripedN15benchmark_utils11custom_typeIddEELj256ELj3ELj100EEvPKT0_PKjPS4_
; %bb.0:
	s_load_b64 s[4:5], s[0:1], 0x0
	v_mul_u32_u24_e32 v1, 3, v0
	s_mov_b32 s3, 0
	s_mul_i32 s2, s15, 0x300
	v_lshrrev_b32_e32 v13, 5, v0
	s_lshl_b64 s[2:3], s[2:3], 4
	v_lshlrev_b32_e32 v9, 4, v1
	s_delay_alu instid0(VALU_DEP_2) | instskip(SKIP_1) | instid1(VALU_DEP_2)
	v_mul_u32_u24_e32 v14, 0x60, v13
	v_mbcnt_lo_u32_b32 v13, -1, 0
	v_lshlrev_b32_e32 v15, 4, v14
	s_delay_alu instid0(VALU_DEP_2) | instskip(NEXT) | instid1(VALU_DEP_2)
	v_or_b32_e32 v16, v13, v14
	v_mad_u32_u24 v14, v13, 48, v15
	s_waitcnt lgkmcnt(0)
	s_add_u32 s4, s4, s2
	s_addc_u32 s5, s5, s3
	v_lshlrev_b32_e32 v15, 4, v16
	s_clause 0x2
	global_load_b128 v[1:4], v9, s[4:5] offset:32
	global_load_b128 v[5:8], v9, s[4:5] offset:16
	global_load_b128 v[9:12], v9, s[4:5]
	s_movk_i32 s4, 0x64
.LBB86_1:                               ; =>This Inner Loop Header: Depth=1
	s_waitcnt vmcnt(0)
	ds_store_b128 v14, v[9:12]
	ds_store_b128 v14, v[5:8] offset:16
	ds_store_b128 v14, v[1:4] offset:32
	; wave barrier
	ds_load_b128 v[9:12], v15
	ds_load_b128 v[5:8], v15 offset:512
	ds_load_b128 v[1:4], v15 offset:1024
	s_add_i32 s4, s4, -1
	s_waitcnt lgkmcnt(0)
	s_cmp_lg_u32 s4, 0
	s_barrier
	buffer_gl0_inv
	s_cbranch_scc1 .LBB86_1
; %bb.2:
	s_load_b64 s[0:1], s[0:1], 0x10
	v_and_b32_e32 v0, 0xe0, v0
	v_lshlrev_b32_e32 v13, 4, v13
	s_delay_alu instid0(VALU_DEP_2) | instskip(NEXT) | instid1(VALU_DEP_1)
	v_mul_u32_u24_e32 v0, 3, v0
	v_lshlrev_b32_e32 v0, 4, v0
	s_waitcnt lgkmcnt(0)
	s_add_u32 s0, s0, s2
	s_addc_u32 s1, s1, s3
	v_add_co_u32 v13, s0, s0, v13
	s_delay_alu instid0(VALU_DEP_1) | instskip(NEXT) | instid1(VALU_DEP_2)
	v_add_co_ci_u32_e64 v14, null, s1, 0, s0
	v_add_co_u32 v13, vcc_lo, v13, v0
	s_delay_alu instid0(VALU_DEP_2)
	v_add_co_ci_u32_e32 v14, vcc_lo, 0, v14, vcc_lo
	s_clause 0x2
	global_store_b128 v[13:14], v[9:12], off
	global_store_b128 v[13:14], v[5:8], off offset:512
	global_store_b128 v[13:14], v[1:4], off offset:1024
	s_nop 0
	s_sendmsg sendmsg(MSG_DEALLOC_VGPRS)
	s_endpgm
	.section	.rodata,"a",@progbits
	.p2align	6, 0x0
	.amdhsa_kernel _Z6kernelI23blocked_to_warp_stripedN15benchmark_utils11custom_typeIddEELj256ELj3ELj100EEvPKT0_PKjPS4_
		.amdhsa_group_segment_fixed_size 12288
		.amdhsa_private_segment_fixed_size 0
		.amdhsa_kernarg_size 24
		.amdhsa_user_sgpr_count 15
		.amdhsa_user_sgpr_dispatch_ptr 0
		.amdhsa_user_sgpr_queue_ptr 0
		.amdhsa_user_sgpr_kernarg_segment_ptr 1
		.amdhsa_user_sgpr_dispatch_id 0
		.amdhsa_user_sgpr_private_segment_size 0
		.amdhsa_wavefront_size32 1
		.amdhsa_uses_dynamic_stack 0
		.amdhsa_enable_private_segment 0
		.amdhsa_system_sgpr_workgroup_id_x 1
		.amdhsa_system_sgpr_workgroup_id_y 0
		.amdhsa_system_sgpr_workgroup_id_z 0
		.amdhsa_system_sgpr_workgroup_info 0
		.amdhsa_system_vgpr_workitem_id 0
		.amdhsa_next_free_vgpr 17
		.amdhsa_next_free_sgpr 16
		.amdhsa_reserve_vcc 1
		.amdhsa_float_round_mode_32 0
		.amdhsa_float_round_mode_16_64 0
		.amdhsa_float_denorm_mode_32 3
		.amdhsa_float_denorm_mode_16_64 3
		.amdhsa_dx10_clamp 1
		.amdhsa_ieee_mode 1
		.amdhsa_fp16_overflow 0
		.amdhsa_workgroup_processor_mode 1
		.amdhsa_memory_ordered 1
		.amdhsa_forward_progress 0
		.amdhsa_shared_vgpr_count 0
		.amdhsa_exception_fp_ieee_invalid_op 0
		.amdhsa_exception_fp_denorm_src 0
		.amdhsa_exception_fp_ieee_div_zero 0
		.amdhsa_exception_fp_ieee_overflow 0
		.amdhsa_exception_fp_ieee_underflow 0
		.amdhsa_exception_fp_ieee_inexact 0
		.amdhsa_exception_int_div_zero 0
	.end_amdhsa_kernel
	.section	.text._Z6kernelI23blocked_to_warp_stripedN15benchmark_utils11custom_typeIddEELj256ELj3ELj100EEvPKT0_PKjPS4_,"axG",@progbits,_Z6kernelI23blocked_to_warp_stripedN15benchmark_utils11custom_typeIddEELj256ELj3ELj100EEvPKT0_PKjPS4_,comdat
.Lfunc_end86:
	.size	_Z6kernelI23blocked_to_warp_stripedN15benchmark_utils11custom_typeIddEELj256ELj3ELj100EEvPKT0_PKjPS4_, .Lfunc_end86-_Z6kernelI23blocked_to_warp_stripedN15benchmark_utils11custom_typeIddEELj256ELj3ELj100EEvPKT0_PKjPS4_
                                        ; -- End function
	.section	.AMDGPU.csdata,"",@progbits
; Kernel info:
; codeLenInByte = 324
; NumSgprs: 18
; NumVgprs: 17
; ScratchSize: 0
; MemoryBound: 0
; FloatMode: 240
; IeeeMode: 1
; LDSByteSize: 12288 bytes/workgroup (compile time only)
; SGPRBlocks: 2
; VGPRBlocks: 2
; NumSGPRsForWavesPerEU: 18
; NumVGPRsForWavesPerEU: 17
; Occupancy: 16
; WaveLimiterHint : 1
; COMPUTE_PGM_RSRC2:SCRATCH_EN: 0
; COMPUTE_PGM_RSRC2:USER_SGPR: 15
; COMPUTE_PGM_RSRC2:TRAP_HANDLER: 0
; COMPUTE_PGM_RSRC2:TGID_X_EN: 1
; COMPUTE_PGM_RSRC2:TGID_Y_EN: 0
; COMPUTE_PGM_RSRC2:TGID_Z_EN: 0
; COMPUTE_PGM_RSRC2:TIDIG_COMP_CNT: 0
	.section	.text._Z6kernelI23blocked_to_warp_stripedN15benchmark_utils11custom_typeIddEELj256ELj4ELj100EEvPKT0_PKjPS4_,"axG",@progbits,_Z6kernelI23blocked_to_warp_stripedN15benchmark_utils11custom_typeIddEELj256ELj4ELj100EEvPKT0_PKjPS4_,comdat
	.protected	_Z6kernelI23blocked_to_warp_stripedN15benchmark_utils11custom_typeIddEELj256ELj4ELj100EEvPKT0_PKjPS4_ ; -- Begin function _Z6kernelI23blocked_to_warp_stripedN15benchmark_utils11custom_typeIddEELj256ELj4ELj100EEvPKT0_PKjPS4_
	.globl	_Z6kernelI23blocked_to_warp_stripedN15benchmark_utils11custom_typeIddEELj256ELj4ELj100EEvPKT0_PKjPS4_
	.p2align	8
	.type	_Z6kernelI23blocked_to_warp_stripedN15benchmark_utils11custom_typeIddEELj256ELj4ELj100EEvPKT0_PKjPS4_,@function
_Z6kernelI23blocked_to_warp_stripedN15benchmark_utils11custom_typeIddEELj256ELj4ELj100EEvPKT0_PKjPS4_: ; @_Z6kernelI23blocked_to_warp_stripedN15benchmark_utils11custom_typeIddEELj256ELj4ELj100EEvPKT0_PKjPS4_
; %bb.0:
	s_load_b64 s[4:5], s[0:1], 0x0
	s_mov_b32 s3, 0
	s_lshl_b32 s2, s15, 10
	v_lshlrev_b32_e32 v13, 6, v0
	s_lshl_b64 s[2:3], s[2:3], 4
	v_mbcnt_lo_u32_b32 v17, -1, 0
	s_delay_alu instid0(VALU_DEP_1) | instskip(SKIP_1) | instid1(VALU_DEP_2)
	v_and_or_b32 v18, 0xe0, v0, v17
	v_lshlrev_b32_e32 v0, 2, v0
	v_lshlrev_b32_e32 v19, 1, v18
	s_delay_alu instid0(VALU_DEP_2) | instskip(NEXT) | instid1(VALU_DEP_2)
	v_and_b32_e32 v0, 0x380, v0
	v_and_b32_e32 v19, 0x1f0, v19
	s_waitcnt lgkmcnt(0)
	s_add_u32 s4, s4, s2
	s_addc_u32 s5, s5, s3
	s_clause 0x3
	global_load_b128 v[1:4], v13, s[4:5] offset:48
	global_load_b128 v[5:8], v13, s[4:5] offset:32
	;; [unrolled: 1-line block ×3, first 2 shown]
	global_load_b128 v[13:16], v13, s[4:5]
	v_or_b32_e32 v20, 32, v0
	v_or_b32_e32 v21, 64, v0
	;; [unrolled: 1-line block ×4, first 2 shown]
	v_lshrrev_b32_e32 v24, 5, v0
	v_lshrrev_b32_e32 v20, 5, v20
	;; [unrolled: 1-line block ×4, first 2 shown]
	v_lshl_add_u32 v18, v18, 6, v19
	v_add_lshl_u32 v19, v24, v23, 4
	v_add_lshl_u32 v20, v20, v23, 4
	;; [unrolled: 1-line block ×4, first 2 shown]
	s_movk_i32 s4, 0x64
	.p2align	6
.LBB87_1:                               ; =>This Inner Loop Header: Depth=1
	s_waitcnt vmcnt(0)
	ds_store_b128 v18, v[13:16]
	ds_store_b128 v18, v[9:12] offset:16
	ds_store_b128 v18, v[5:8] offset:32
	;; [unrolled: 1-line block ×3, first 2 shown]
	; wave barrier
	ds_load_b128 v[13:16], v19
	ds_load_b128 v[9:12], v20 offset:512
	ds_load_b128 v[5:8], v21 offset:1024
	;; [unrolled: 1-line block ×3, first 2 shown]
	s_add_i32 s4, s4, -1
	s_waitcnt lgkmcnt(0)
	s_cmp_lg_u32 s4, 0
	s_barrier
	buffer_gl0_inv
	s_cbranch_scc1 .LBB87_1
; %bb.2:
	s_load_b64 s[0:1], s[0:1], 0x10
	v_lshlrev_b32_e32 v17, 4, v17
	v_lshlrev_b32_e32 v0, 4, v0
	s_waitcnt lgkmcnt(0)
	s_add_u32 s0, s0, s2
	s_addc_u32 s1, s1, s3
	v_add_co_u32 v17, s0, s0, v17
	s_delay_alu instid0(VALU_DEP_1) | instskip(NEXT) | instid1(VALU_DEP_2)
	v_add_co_ci_u32_e64 v18, null, s1, 0, s0
	v_add_co_u32 v17, vcc_lo, v17, v0
	s_delay_alu instid0(VALU_DEP_2)
	v_add_co_ci_u32_e32 v18, vcc_lo, 0, v18, vcc_lo
	s_clause 0x3
	global_store_b128 v[17:18], v[13:16], off
	global_store_b128 v[17:18], v[9:12], off offset:512
	global_store_b128 v[17:18], v[5:8], off offset:1024
	;; [unrolled: 1-line block ×3, first 2 shown]
	s_nop 0
	s_sendmsg sendmsg(MSG_DEALLOC_VGPRS)
	s_endpgm
	.section	.rodata,"a",@progbits
	.p2align	6, 0x0
	.amdhsa_kernel _Z6kernelI23blocked_to_warp_stripedN15benchmark_utils11custom_typeIddEELj256ELj4ELj100EEvPKT0_PKjPS4_
		.amdhsa_group_segment_fixed_size 16896
		.amdhsa_private_segment_fixed_size 0
		.amdhsa_kernarg_size 24
		.amdhsa_user_sgpr_count 15
		.amdhsa_user_sgpr_dispatch_ptr 0
		.amdhsa_user_sgpr_queue_ptr 0
		.amdhsa_user_sgpr_kernarg_segment_ptr 1
		.amdhsa_user_sgpr_dispatch_id 0
		.amdhsa_user_sgpr_private_segment_size 0
		.amdhsa_wavefront_size32 1
		.amdhsa_uses_dynamic_stack 0
		.amdhsa_enable_private_segment 0
		.amdhsa_system_sgpr_workgroup_id_x 1
		.amdhsa_system_sgpr_workgroup_id_y 0
		.amdhsa_system_sgpr_workgroup_id_z 0
		.amdhsa_system_sgpr_workgroup_info 0
		.amdhsa_system_vgpr_workitem_id 0
		.amdhsa_next_free_vgpr 25
		.amdhsa_next_free_sgpr 16
		.amdhsa_reserve_vcc 1
		.amdhsa_float_round_mode_32 0
		.amdhsa_float_round_mode_16_64 0
		.amdhsa_float_denorm_mode_32 3
		.amdhsa_float_denorm_mode_16_64 3
		.amdhsa_dx10_clamp 1
		.amdhsa_ieee_mode 1
		.amdhsa_fp16_overflow 0
		.amdhsa_workgroup_processor_mode 1
		.amdhsa_memory_ordered 1
		.amdhsa_forward_progress 0
		.amdhsa_shared_vgpr_count 0
		.amdhsa_exception_fp_ieee_invalid_op 0
		.amdhsa_exception_fp_denorm_src 0
		.amdhsa_exception_fp_ieee_div_zero 0
		.amdhsa_exception_fp_ieee_overflow 0
		.amdhsa_exception_fp_ieee_underflow 0
		.amdhsa_exception_fp_ieee_inexact 0
		.amdhsa_exception_int_div_zero 0
	.end_amdhsa_kernel
	.section	.text._Z6kernelI23blocked_to_warp_stripedN15benchmark_utils11custom_typeIddEELj256ELj4ELj100EEvPKT0_PKjPS4_,"axG",@progbits,_Z6kernelI23blocked_to_warp_stripedN15benchmark_utils11custom_typeIddEELj256ELj4ELj100EEvPKT0_PKjPS4_,comdat
.Lfunc_end87:
	.size	_Z6kernelI23blocked_to_warp_stripedN15benchmark_utils11custom_typeIddEELj256ELj4ELj100EEvPKT0_PKjPS4_, .Lfunc_end87-_Z6kernelI23blocked_to_warp_stripedN15benchmark_utils11custom_typeIddEELj256ELj4ELj100EEvPKT0_PKjPS4_
                                        ; -- End function
	.section	.AMDGPU.csdata,"",@progbits
; Kernel info:
; codeLenInByte = 412
; NumSgprs: 18
; NumVgprs: 25
; ScratchSize: 0
; MemoryBound: 0
; FloatMode: 240
; IeeeMode: 1
; LDSByteSize: 16896 bytes/workgroup (compile time only)
; SGPRBlocks: 2
; VGPRBlocks: 3
; NumSGPRsForWavesPerEU: 18
; NumVGPRsForWavesPerEU: 25
; Occupancy: 14
; WaveLimiterHint : 1
; COMPUTE_PGM_RSRC2:SCRATCH_EN: 0
; COMPUTE_PGM_RSRC2:USER_SGPR: 15
; COMPUTE_PGM_RSRC2:TRAP_HANDLER: 0
; COMPUTE_PGM_RSRC2:TGID_X_EN: 1
; COMPUTE_PGM_RSRC2:TGID_Y_EN: 0
; COMPUTE_PGM_RSRC2:TGID_Z_EN: 0
; COMPUTE_PGM_RSRC2:TIDIG_COMP_CNT: 0
	.section	.text._Z6kernelI23blocked_to_warp_stripedN15benchmark_utils11custom_typeIddEELj256ELj7ELj100EEvPKT0_PKjPS4_,"axG",@progbits,_Z6kernelI23blocked_to_warp_stripedN15benchmark_utils11custom_typeIddEELj256ELj7ELj100EEvPKT0_PKjPS4_,comdat
	.protected	_Z6kernelI23blocked_to_warp_stripedN15benchmark_utils11custom_typeIddEELj256ELj7ELj100EEvPKT0_PKjPS4_ ; -- Begin function _Z6kernelI23blocked_to_warp_stripedN15benchmark_utils11custom_typeIddEELj256ELj7ELj100EEvPKT0_PKjPS4_
	.globl	_Z6kernelI23blocked_to_warp_stripedN15benchmark_utils11custom_typeIddEELj256ELj7ELj100EEvPKT0_PKjPS4_
	.p2align	8
	.type	_Z6kernelI23blocked_to_warp_stripedN15benchmark_utils11custom_typeIddEELj256ELj7ELj100EEvPKT0_PKjPS4_,@function
_Z6kernelI23blocked_to_warp_stripedN15benchmark_utils11custom_typeIddEELj256ELj7ELj100EEvPKT0_PKjPS4_: ; @_Z6kernelI23blocked_to_warp_stripedN15benchmark_utils11custom_typeIddEELj256ELj7ELj100EEvPKT0_PKjPS4_
; %bb.0:
	s_load_b64 s[4:5], s[0:1], 0x0
	v_mul_u32_u24_e32 v1, 7, v0
	s_mov_b32 s3, 0
	s_mul_i32 s2, s15, 0x700
	v_lshrrev_b32_e32 v29, 5, v0
	s_lshl_b64 s[2:3], s[2:3], 4
	v_lshlrev_b32_e32 v25, 4, v1
	s_delay_alu instid0(VALU_DEP_2) | instskip(SKIP_1) | instid1(VALU_DEP_2)
	v_mul_u32_u24_e32 v30, 0xe0, v29
	v_mbcnt_lo_u32_b32 v29, -1, 0
	v_lshlrev_b32_e32 v31, 4, v30
	s_delay_alu instid0(VALU_DEP_2) | instskip(NEXT) | instid1(VALU_DEP_2)
	v_or_b32_e32 v32, v29, v30
	v_mad_u32_u24 v30, 0x70, v29, v31
	s_waitcnt lgkmcnt(0)
	s_add_u32 s4, s4, s2
	s_addc_u32 s5, s5, s3
	v_lshlrev_b32_e32 v31, 4, v32
	s_clause 0x6
	global_load_b128 v[1:4], v25, s[4:5] offset:48
	global_load_b128 v[5:8], v25, s[4:5] offset:32
	;; [unrolled: 1-line block ×3, first 2 shown]
	global_load_b128 v[13:16], v25, s[4:5]
	global_load_b128 v[17:20], v25, s[4:5] offset:96
	global_load_b128 v[21:24], v25, s[4:5] offset:80
	;; [unrolled: 1-line block ×3, first 2 shown]
	s_movk_i32 s4, 0x64
	.p2align	6
.LBB88_1:                               ; =>This Inner Loop Header: Depth=1
	s_waitcnt vmcnt(3)
	ds_store_b128 v30, v[13:16]
	ds_store_b128 v30, v[9:12] offset:16
	ds_store_b128 v30, v[5:8] offset:32
	;; [unrolled: 1-line block ×3, first 2 shown]
	s_waitcnt vmcnt(0)
	ds_store_b128 v30, v[25:28] offset:64
	ds_store_b128 v30, v[21:24] offset:80
	;; [unrolled: 1-line block ×3, first 2 shown]
	; wave barrier
	ds_load_b128 v[13:16], v31
	ds_load_b128 v[9:12], v31 offset:512
	ds_load_b128 v[5:8], v31 offset:1024
	ds_load_b128 v[1:4], v31 offset:1536
	ds_load_b128 v[25:28], v31 offset:2048
	ds_load_b128 v[21:24], v31 offset:2560
	ds_load_b128 v[17:20], v31 offset:3072
	s_add_i32 s4, s4, -1
	s_waitcnt lgkmcnt(0)
	s_cmp_lg_u32 s4, 0
	s_barrier
	buffer_gl0_inv
	s_cbranch_scc1 .LBB88_1
; %bb.2:
	s_load_b64 s[0:1], s[0:1], 0x10
	v_and_b32_e32 v0, 0xe0, v0
	v_lshlrev_b32_e32 v29, 4, v29
	s_delay_alu instid0(VALU_DEP_2) | instskip(NEXT) | instid1(VALU_DEP_1)
	v_mul_u32_u24_e32 v0, 7, v0
	v_lshlrev_b32_e32 v0, 4, v0
	s_waitcnt lgkmcnt(0)
	s_add_u32 s0, s0, s2
	s_addc_u32 s1, s1, s3
	v_add_co_u32 v29, s0, s0, v29
	s_delay_alu instid0(VALU_DEP_1) | instskip(NEXT) | instid1(VALU_DEP_2)
	v_add_co_ci_u32_e64 v30, null, s1, 0, s0
	v_add_co_u32 v29, vcc_lo, v29, v0
	s_delay_alu instid0(VALU_DEP_2)
	v_add_co_ci_u32_e32 v30, vcc_lo, 0, v30, vcc_lo
	s_clause 0x6
	global_store_b128 v[29:30], v[13:16], off
	global_store_b128 v[29:30], v[9:12], off offset:512
	global_store_b128 v[29:30], v[5:8], off offset:1024
	;; [unrolled: 1-line block ×6, first 2 shown]
	s_nop 0
	s_sendmsg sendmsg(MSG_DEALLOC_VGPRS)
	s_endpgm
	.section	.rodata,"a",@progbits
	.p2align	6, 0x0
	.amdhsa_kernel _Z6kernelI23blocked_to_warp_stripedN15benchmark_utils11custom_typeIddEELj256ELj7ELj100EEvPKT0_PKjPS4_
		.amdhsa_group_segment_fixed_size 28672
		.amdhsa_private_segment_fixed_size 0
		.amdhsa_kernarg_size 24
		.amdhsa_user_sgpr_count 15
		.amdhsa_user_sgpr_dispatch_ptr 0
		.amdhsa_user_sgpr_queue_ptr 0
		.amdhsa_user_sgpr_kernarg_segment_ptr 1
		.amdhsa_user_sgpr_dispatch_id 0
		.amdhsa_user_sgpr_private_segment_size 0
		.amdhsa_wavefront_size32 1
		.amdhsa_uses_dynamic_stack 0
		.amdhsa_enable_private_segment 0
		.amdhsa_system_sgpr_workgroup_id_x 1
		.amdhsa_system_sgpr_workgroup_id_y 0
		.amdhsa_system_sgpr_workgroup_id_z 0
		.amdhsa_system_sgpr_workgroup_info 0
		.amdhsa_system_vgpr_workitem_id 0
		.amdhsa_next_free_vgpr 33
		.amdhsa_next_free_sgpr 16
		.amdhsa_reserve_vcc 1
		.amdhsa_float_round_mode_32 0
		.amdhsa_float_round_mode_16_64 0
		.amdhsa_float_denorm_mode_32 3
		.amdhsa_float_denorm_mode_16_64 3
		.amdhsa_dx10_clamp 1
		.amdhsa_ieee_mode 1
		.amdhsa_fp16_overflow 0
		.amdhsa_workgroup_processor_mode 1
		.amdhsa_memory_ordered 1
		.amdhsa_forward_progress 0
		.amdhsa_shared_vgpr_count 0
		.amdhsa_exception_fp_ieee_invalid_op 0
		.amdhsa_exception_fp_denorm_src 0
		.amdhsa_exception_fp_ieee_div_zero 0
		.amdhsa_exception_fp_ieee_overflow 0
		.amdhsa_exception_fp_ieee_underflow 0
		.amdhsa_exception_fp_ieee_inexact 0
		.amdhsa_exception_int_div_zero 0
	.end_amdhsa_kernel
	.section	.text._Z6kernelI23blocked_to_warp_stripedN15benchmark_utils11custom_typeIddEELj256ELj7ELj100EEvPKT0_PKjPS4_,"axG",@progbits,_Z6kernelI23blocked_to_warp_stripedN15benchmark_utils11custom_typeIddEELj256ELj7ELj100EEvPKT0_PKjPS4_,comdat
.Lfunc_end88:
	.size	_Z6kernelI23blocked_to_warp_stripedN15benchmark_utils11custom_typeIddEELj256ELj7ELj100EEvPKT0_PKjPS4_, .Lfunc_end88-_Z6kernelI23blocked_to_warp_stripedN15benchmark_utils11custom_typeIddEELj256ELj7ELj100EEvPKT0_PKjPS4_
                                        ; -- End function
	.section	.AMDGPU.csdata,"",@progbits
; Kernel info:
; codeLenInByte = 460
; NumSgprs: 18
; NumVgprs: 33
; ScratchSize: 0
; MemoryBound: 1
; FloatMode: 240
; IeeeMode: 1
; LDSByteSize: 28672 bytes/workgroup (compile time only)
; SGPRBlocks: 2
; VGPRBlocks: 4
; NumSGPRsForWavesPerEU: 18
; NumVGPRsForWavesPerEU: 33
; Occupancy: 8
; WaveLimiterHint : 1
; COMPUTE_PGM_RSRC2:SCRATCH_EN: 0
; COMPUTE_PGM_RSRC2:USER_SGPR: 15
; COMPUTE_PGM_RSRC2:TRAP_HANDLER: 0
; COMPUTE_PGM_RSRC2:TGID_X_EN: 1
; COMPUTE_PGM_RSRC2:TGID_Y_EN: 0
; COMPUTE_PGM_RSRC2:TGID_Z_EN: 0
; COMPUTE_PGM_RSRC2:TIDIG_COMP_CNT: 0
	.section	.text._Z6kernelI23blocked_to_warp_stripedN15benchmark_utils11custom_typeIddEELj256ELj8ELj100EEvPKT0_PKjPS4_,"axG",@progbits,_Z6kernelI23blocked_to_warp_stripedN15benchmark_utils11custom_typeIddEELj256ELj8ELj100EEvPKT0_PKjPS4_,comdat
	.protected	_Z6kernelI23blocked_to_warp_stripedN15benchmark_utils11custom_typeIddEELj256ELj8ELj100EEvPKT0_PKjPS4_ ; -- Begin function _Z6kernelI23blocked_to_warp_stripedN15benchmark_utils11custom_typeIddEELj256ELj8ELj100EEvPKT0_PKjPS4_
	.globl	_Z6kernelI23blocked_to_warp_stripedN15benchmark_utils11custom_typeIddEELj256ELj8ELj100EEvPKT0_PKjPS4_
	.p2align	8
	.type	_Z6kernelI23blocked_to_warp_stripedN15benchmark_utils11custom_typeIddEELj256ELj8ELj100EEvPKT0_PKjPS4_,@function
_Z6kernelI23blocked_to_warp_stripedN15benchmark_utils11custom_typeIddEELj256ELj8ELj100EEvPKT0_PKjPS4_: ; @_Z6kernelI23blocked_to_warp_stripedN15benchmark_utils11custom_typeIddEELj256ELj8ELj100EEvPKT0_PKjPS4_
; %bb.0:
	s_load_b64 s[4:5], s[0:1], 0x0
	s_mov_b32 s3, 0
	s_lshl_b32 s2, s15, 11
	v_lshlrev_b32_e32 v29, 7, v0
	s_lshl_b64 s[2:3], s[2:3], 4
	v_mbcnt_lo_u32_b32 v33, -1, 0
	v_lshlrev_b32_e32 v34, 3, v0
	s_delay_alu instid0(VALU_DEP_2) | instskip(NEXT) | instid1(VALU_DEP_2)
	v_and_or_b32 v35, 0xe0, v0, v33
	v_and_b32_e32 v0, 0x700, v34
	s_delay_alu instid0(VALU_DEP_2) | instskip(NEXT) | instid1(VALU_DEP_2)
	v_lshlrev_b32_e32 v34, 2, v35
	v_or_b32_e32 v42, v33, v0
	v_lshrrev_b32_e32 v38, 5, v0
	v_or_b32_e32 v36, 32, v0
	v_or_b32_e32 v37, 64, v0
	s_waitcnt lgkmcnt(0)
	s_add_u32 s4, s4, s2
	s_addc_u32 s5, s5, s3
	v_and_b32_e32 v34, 0x3f0, v34
	s_clause 0x7
	global_load_b128 v[1:4], v29, s[4:5] offset:48
	global_load_b128 v[5:8], v29, s[4:5] offset:32
	;; [unrolled: 1-line block ×3, first 2 shown]
	global_load_b128 v[13:16], v29, s[4:5]
	global_load_b128 v[17:20], v29, s[4:5] offset:112
	global_load_b128 v[21:24], v29, s[4:5] offset:96
	;; [unrolled: 1-line block ×4, first 2 shown]
	v_or_b32_e32 v39, 0x80, v0
	v_or_b32_e32 v40, 0xa0, v0
	;; [unrolled: 1-line block ×3, first 2 shown]
	v_lshl_add_u32 v34, v35, 7, v34
	v_add_lshl_u32 v35, v38, v42, 4
	v_or_b32_e32 v38, 0x60, v0
	v_or_b32_e32 v43, 0xe0, v0
	v_lshrrev_b32_e32 v36, 5, v36
	v_lshrrev_b32_e32 v37, 5, v37
	;; [unrolled: 1-line block ×7, first 2 shown]
	v_add_lshl_u32 v36, v36, v42, 4
	v_add_lshl_u32 v37, v37, v42, 4
	;; [unrolled: 1-line block ×7, first 2 shown]
	s_movk_i32 s4, 0x64
	s_set_inst_prefetch_distance 0x1
	.p2align	6
.LBB89_1:                               ; =>This Inner Loop Header: Depth=1
	s_waitcnt vmcnt(4)
	ds_store_b128 v34, v[13:16]
	ds_store_b128 v34, v[9:12] offset:16
	ds_store_b128 v34, v[5:8] offset:32
	;; [unrolled: 1-line block ×3, first 2 shown]
	s_waitcnt vmcnt(0)
	ds_store_b128 v34, v[29:32] offset:64
	ds_store_b128 v34, v[25:28] offset:80
	ds_store_b128 v34, v[21:24] offset:96
	ds_store_b128 v34, v[17:20] offset:112
	; wave barrier
	ds_load_b128 v[13:16], v35
	ds_load_b128 v[9:12], v36 offset:512
	ds_load_b128 v[5:8], v37 offset:1024
	;; [unrolled: 1-line block ×7, first 2 shown]
	s_add_i32 s4, s4, -1
	s_waitcnt lgkmcnt(0)
	s_cmp_lg_u32 s4, 0
	s_barrier
	buffer_gl0_inv
	s_cbranch_scc1 .LBB89_1
; %bb.2:
	s_set_inst_prefetch_distance 0x2
	s_load_b64 s[0:1], s[0:1], 0x10
	v_lshlrev_b32_e32 v33, 4, v33
	v_lshlrev_b32_e32 v0, 4, v0
	s_waitcnt lgkmcnt(0)
	s_add_u32 s0, s0, s2
	s_addc_u32 s1, s1, s3
	v_add_co_u32 v33, s0, s0, v33
	s_delay_alu instid0(VALU_DEP_1) | instskip(NEXT) | instid1(VALU_DEP_2)
	v_add_co_ci_u32_e64 v34, null, s1, 0, s0
	v_add_co_u32 v33, vcc_lo, v33, v0
	s_delay_alu instid0(VALU_DEP_2)
	v_add_co_ci_u32_e32 v34, vcc_lo, 0, v34, vcc_lo
	s_clause 0x7
	global_store_b128 v[33:34], v[13:16], off
	global_store_b128 v[33:34], v[9:12], off offset:512
	global_store_b128 v[33:34], v[5:8], off offset:1024
	;; [unrolled: 1-line block ×7, first 2 shown]
	s_nop 0
	s_sendmsg sendmsg(MSG_DEALLOC_VGPRS)
	s_endpgm
	.section	.rodata,"a",@progbits
	.p2align	6, 0x0
	.amdhsa_kernel _Z6kernelI23blocked_to_warp_stripedN15benchmark_utils11custom_typeIddEELj256ELj8ELj100EEvPKT0_PKjPS4_
		.amdhsa_group_segment_fixed_size 33792
		.amdhsa_private_segment_fixed_size 0
		.amdhsa_kernarg_size 24
		.amdhsa_user_sgpr_count 15
		.amdhsa_user_sgpr_dispatch_ptr 0
		.amdhsa_user_sgpr_queue_ptr 0
		.amdhsa_user_sgpr_kernarg_segment_ptr 1
		.amdhsa_user_sgpr_dispatch_id 0
		.amdhsa_user_sgpr_private_segment_size 0
		.amdhsa_wavefront_size32 1
		.amdhsa_uses_dynamic_stack 0
		.amdhsa_enable_private_segment 0
		.amdhsa_system_sgpr_workgroup_id_x 1
		.amdhsa_system_sgpr_workgroup_id_y 0
		.amdhsa_system_sgpr_workgroup_id_z 0
		.amdhsa_system_sgpr_workgroup_info 0
		.amdhsa_system_vgpr_workitem_id 0
		.amdhsa_next_free_vgpr 44
		.amdhsa_next_free_sgpr 16
		.amdhsa_reserve_vcc 1
		.amdhsa_float_round_mode_32 0
		.amdhsa_float_round_mode_16_64 0
		.amdhsa_float_denorm_mode_32 3
		.amdhsa_float_denorm_mode_16_64 3
		.amdhsa_dx10_clamp 1
		.amdhsa_ieee_mode 1
		.amdhsa_fp16_overflow 0
		.amdhsa_workgroup_processor_mode 1
		.amdhsa_memory_ordered 1
		.amdhsa_forward_progress 0
		.amdhsa_shared_vgpr_count 0
		.amdhsa_exception_fp_ieee_invalid_op 0
		.amdhsa_exception_fp_denorm_src 0
		.amdhsa_exception_fp_ieee_div_zero 0
		.amdhsa_exception_fp_ieee_overflow 0
		.amdhsa_exception_fp_ieee_underflow 0
		.amdhsa_exception_fp_ieee_inexact 0
		.amdhsa_exception_int_div_zero 0
	.end_amdhsa_kernel
	.section	.text._Z6kernelI23blocked_to_warp_stripedN15benchmark_utils11custom_typeIddEELj256ELj8ELj100EEvPKT0_PKjPS4_,"axG",@progbits,_Z6kernelI23blocked_to_warp_stripedN15benchmark_utils11custom_typeIddEELj256ELj8ELj100EEvPKT0_PKjPS4_,comdat
.Lfunc_end89:
	.size	_Z6kernelI23blocked_to_warp_stripedN15benchmark_utils11custom_typeIddEELj256ELj8ELj100EEvPKT0_PKjPS4_, .Lfunc_end89-_Z6kernelI23blocked_to_warp_stripedN15benchmark_utils11custom_typeIddEELj256ELj8ELj100EEvPKT0_PKjPS4_
                                        ; -- End function
	.section	.AMDGPU.csdata,"",@progbits
; Kernel info:
; codeLenInByte = 632
; NumSgprs: 18
; NumVgprs: 44
; ScratchSize: 0
; MemoryBound: 0
; FloatMode: 240
; IeeeMode: 1
; LDSByteSize: 33792 bytes/workgroup (compile time only)
; SGPRBlocks: 2
; VGPRBlocks: 5
; NumSGPRsForWavesPerEU: 18
; NumVGPRsForWavesPerEU: 44
; Occupancy: 6
; WaveLimiterHint : 1
; COMPUTE_PGM_RSRC2:SCRATCH_EN: 0
; COMPUTE_PGM_RSRC2:USER_SGPR: 15
; COMPUTE_PGM_RSRC2:TRAP_HANDLER: 0
; COMPUTE_PGM_RSRC2:TGID_X_EN: 1
; COMPUTE_PGM_RSRC2:TGID_Y_EN: 0
; COMPUTE_PGM_RSRC2:TGID_Z_EN: 0
; COMPUTE_PGM_RSRC2:TIDIG_COMP_CNT: 0
	.section	.text._Z6kernelI23warp_striped_to_blockediLj256ELj1ELj100EEvPKT0_PKjPS1_,"axG",@progbits,_Z6kernelI23warp_striped_to_blockediLj256ELj1ELj100EEvPKT0_PKjPS1_,comdat
	.protected	_Z6kernelI23warp_striped_to_blockediLj256ELj1ELj100EEvPKT0_PKjPS1_ ; -- Begin function _Z6kernelI23warp_striped_to_blockediLj256ELj1ELj100EEvPKT0_PKjPS1_
	.globl	_Z6kernelI23warp_striped_to_blockediLj256ELj1ELj100EEvPKT0_PKjPS1_
	.p2align	8
	.type	_Z6kernelI23warp_striped_to_blockediLj256ELj1ELj100EEvPKT0_PKjPS1_,@function
_Z6kernelI23warp_striped_to_blockediLj256ELj1ELj100EEvPKT0_PKjPS1_: ; @_Z6kernelI23warp_striped_to_blockediLj256ELj1ELj100EEvPKT0_PKjPS1_
; %bb.0:
	s_load_b64 s[4:5], s[0:1], 0x0
	v_mbcnt_lo_u32_b32 v1, -1, 0
	s_mov_b32 s3, 0
	s_lshl_b32 s2, s15, 8
	v_and_b32_e32 v2, 0xe0, v0
	s_lshl_b64 s[2:3], s[2:3], 2
	v_lshlrev_b32_e32 v3, 2, v1
	s_delay_alu instid0(VALU_DEP_2) | instskip(SKIP_4) | instid1(VALU_DEP_1)
	v_lshlrev_b32_e32 v4, 2, v2
	s_waitcnt lgkmcnt(0)
	s_add_u32 s4, s4, s2
	s_addc_u32 s5, s5, s3
	v_add_co_u32 v1, s4, s4, v3
	v_add_co_ci_u32_e64 v2, null, s5, 0, s4
	s_movk_i32 s4, 0x64
	s_delay_alu instid0(VALU_DEP_2) | instskip(NEXT) | instid1(VALU_DEP_2)
	v_add_co_u32 v1, vcc_lo, v1, v4
	v_add_co_ci_u32_e32 v2, vcc_lo, 0, v2, vcc_lo
	global_load_b32 v1, v[1:2], off
	v_or_b32_e32 v2, v3, v4
.LBB90_1:                               ; =>This Inner Loop Header: Depth=1
	s_waitcnt vmcnt(0)
	ds_store_b32 v2, v1
	; wave barrier
	ds_load_b32 v1, v2
	s_add_i32 s4, s4, -1
	s_waitcnt lgkmcnt(0)
	s_cmp_lg_u32 s4, 0
	s_barrier
	buffer_gl0_inv
	s_cbranch_scc1 .LBB90_1
; %bb.2:
	s_load_b64 s[0:1], s[0:1], 0x10
	v_lshlrev_b32_e32 v0, 2, v0
	s_waitcnt lgkmcnt(0)
	s_add_u32 s0, s0, s2
	s_addc_u32 s1, s1, s3
	global_store_b32 v0, v1, s[0:1]
	s_nop 0
	s_sendmsg sendmsg(MSG_DEALLOC_VGPRS)
	s_endpgm
	.section	.rodata,"a",@progbits
	.p2align	6, 0x0
	.amdhsa_kernel _Z6kernelI23warp_striped_to_blockediLj256ELj1ELj100EEvPKT0_PKjPS1_
		.amdhsa_group_segment_fixed_size 1024
		.amdhsa_private_segment_fixed_size 0
		.amdhsa_kernarg_size 24
		.amdhsa_user_sgpr_count 15
		.amdhsa_user_sgpr_dispatch_ptr 0
		.amdhsa_user_sgpr_queue_ptr 0
		.amdhsa_user_sgpr_kernarg_segment_ptr 1
		.amdhsa_user_sgpr_dispatch_id 0
		.amdhsa_user_sgpr_private_segment_size 0
		.amdhsa_wavefront_size32 1
		.amdhsa_uses_dynamic_stack 0
		.amdhsa_enable_private_segment 0
		.amdhsa_system_sgpr_workgroup_id_x 1
		.amdhsa_system_sgpr_workgroup_id_y 0
		.amdhsa_system_sgpr_workgroup_id_z 0
		.amdhsa_system_sgpr_workgroup_info 0
		.amdhsa_system_vgpr_workitem_id 0
		.amdhsa_next_free_vgpr 5
		.amdhsa_next_free_sgpr 16
		.amdhsa_reserve_vcc 1
		.amdhsa_float_round_mode_32 0
		.amdhsa_float_round_mode_16_64 0
		.amdhsa_float_denorm_mode_32 3
		.amdhsa_float_denorm_mode_16_64 3
		.amdhsa_dx10_clamp 1
		.amdhsa_ieee_mode 1
		.amdhsa_fp16_overflow 0
		.amdhsa_workgroup_processor_mode 1
		.amdhsa_memory_ordered 1
		.amdhsa_forward_progress 0
		.amdhsa_shared_vgpr_count 0
		.amdhsa_exception_fp_ieee_invalid_op 0
		.amdhsa_exception_fp_denorm_src 0
		.amdhsa_exception_fp_ieee_div_zero 0
		.amdhsa_exception_fp_ieee_overflow 0
		.amdhsa_exception_fp_ieee_underflow 0
		.amdhsa_exception_fp_ieee_inexact 0
		.amdhsa_exception_int_div_zero 0
	.end_amdhsa_kernel
	.section	.text._Z6kernelI23warp_striped_to_blockediLj256ELj1ELj100EEvPKT0_PKjPS1_,"axG",@progbits,_Z6kernelI23warp_striped_to_blockediLj256ELj1ELj100EEvPKT0_PKjPS1_,comdat
.Lfunc_end90:
	.size	_Z6kernelI23warp_striped_to_blockediLj256ELj1ELj100EEvPKT0_PKjPS1_, .Lfunc_end90-_Z6kernelI23warp_striped_to_blockediLj256ELj1ELj100EEvPKT0_PKjPS1_
                                        ; -- End function
	.section	.AMDGPU.csdata,"",@progbits
; Kernel info:
; codeLenInByte = 200
; NumSgprs: 18
; NumVgprs: 5
; ScratchSize: 0
; MemoryBound: 0
; FloatMode: 240
; IeeeMode: 1
; LDSByteSize: 1024 bytes/workgroup (compile time only)
; SGPRBlocks: 2
; VGPRBlocks: 0
; NumSGPRsForWavesPerEU: 18
; NumVGPRsForWavesPerEU: 5
; Occupancy: 16
; WaveLimiterHint : 0
; COMPUTE_PGM_RSRC2:SCRATCH_EN: 0
; COMPUTE_PGM_RSRC2:USER_SGPR: 15
; COMPUTE_PGM_RSRC2:TRAP_HANDLER: 0
; COMPUTE_PGM_RSRC2:TGID_X_EN: 1
; COMPUTE_PGM_RSRC2:TGID_Y_EN: 0
; COMPUTE_PGM_RSRC2:TGID_Z_EN: 0
; COMPUTE_PGM_RSRC2:TIDIG_COMP_CNT: 0
	.section	.text._Z6kernelI23warp_striped_to_blockediLj256ELj2ELj100EEvPKT0_PKjPS1_,"axG",@progbits,_Z6kernelI23warp_striped_to_blockediLj256ELj2ELj100EEvPKT0_PKjPS1_,comdat
	.protected	_Z6kernelI23warp_striped_to_blockediLj256ELj2ELj100EEvPKT0_PKjPS1_ ; -- Begin function _Z6kernelI23warp_striped_to_blockediLj256ELj2ELj100EEvPKT0_PKjPS1_
	.globl	_Z6kernelI23warp_striped_to_blockediLj256ELj2ELj100EEvPKT0_PKjPS1_
	.p2align	8
	.type	_Z6kernelI23warp_striped_to_blockediLj256ELj2ELj100EEvPKT0_PKjPS1_,@function
_Z6kernelI23warp_striped_to_blockediLj256ELj2ELj100EEvPKT0_PKjPS1_: ; @_Z6kernelI23warp_striped_to_blockediLj256ELj2ELj100EEvPKT0_PKjPS1_
; %bb.0:
	s_load_b64 s[4:5], s[0:1], 0x0
	v_lshlrev_b32_e32 v3, 1, v0
	v_mbcnt_lo_u32_b32 v6, -1, 0
	s_mov_b32 s3, 0
	s_lshl_b32 s2, s15, 9
	s_delay_alu instid0(VALU_DEP_2) | instskip(NEXT) | instid1(VALU_DEP_2)
	v_and_b32_e32 v7, 0x1c0, v3
	v_lshlrev_b32_e32 v1, 2, v6
	s_lshl_b64 s[2:3], s[2:3], 2
	v_and_or_b32 v0, 0xe0, v0, v6
	s_delay_alu instid0(VALU_DEP_3) | instskip(NEXT) | instid1(VALU_DEP_2)
	v_lshlrev_b32_e32 v2, 2, v7
	v_bfe_u32 v8, v0, 4, 27
	s_waitcnt lgkmcnt(0)
	s_add_u32 s4, s4, s2
	s_addc_u32 s5, s5, s3
	v_add_co_u32 v1, s4, s4, v1
	s_delay_alu instid0(VALU_DEP_1) | instskip(SKIP_1) | instid1(VALU_DEP_2)
	v_add_co_ci_u32_e64 v5, null, s5, 0, s4
	s_movk_i32 s4, 0x64
	v_add_co_u32 v4, vcc_lo, v1, v2
	s_delay_alu instid0(VALU_DEP_2)
	v_add_co_ci_u32_e32 v5, vcc_lo, 0, v5, vcc_lo
	s_clause 0x1
	global_load_b32 v1, v[4:5], off
	global_load_b32 v2, v[4:5], off offset:128
	v_or_b32_e32 v4, v6, v7
	v_or_b32_e32 v5, 32, v7
	v_lshrrev_b32_e32 v6, 3, v7
	v_lshlrev_b32_e32 v7, 1, v0
	s_delay_alu instid0(VALU_DEP_4) | instskip(NEXT) | instid1(VALU_DEP_4)
	v_lshlrev_b32_e32 v4, 2, v4
	v_lshrrev_b32_e32 v5, 3, v5
	s_delay_alu instid0(VALU_DEP_2) | instskip(NEXT) | instid1(VALU_DEP_2)
	v_add_nc_u32_e32 v0, v6, v4
	v_add_nc_u32_e32 v4, v5, v4
	v_add_lshl_u32 v5, v8, v7, 2
.LBB91_1:                               ; =>This Inner Loop Header: Depth=1
	s_waitcnt vmcnt(1)
	ds_store_b32 v0, v1
	s_waitcnt vmcnt(0)
	ds_store_b32 v4, v2 offset:128
	; wave barrier
	ds_load_2addr_b32 v[1:2], v5 offset1:1
	s_add_i32 s4, s4, -1
	s_waitcnt lgkmcnt(0)
	s_cmp_lg_u32 s4, 0
	s_barrier
	buffer_gl0_inv
	s_cbranch_scc1 .LBB91_1
; %bb.2:
	s_load_b64 s[0:1], s[0:1], 0x10
	v_lshlrev_b32_e32 v0, 2, v3
	s_waitcnt lgkmcnt(0)
	s_add_u32 s0, s0, s2
	s_addc_u32 s1, s1, s3
	global_store_b64 v0, v[1:2], s[0:1]
	s_nop 0
	s_sendmsg sendmsg(MSG_DEALLOC_VGPRS)
	s_endpgm
	.section	.rodata,"a",@progbits
	.p2align	6, 0x0
	.amdhsa_kernel _Z6kernelI23warp_striped_to_blockediLj256ELj2ELj100EEvPKT0_PKjPS1_
		.amdhsa_group_segment_fixed_size 2112
		.amdhsa_private_segment_fixed_size 0
		.amdhsa_kernarg_size 24
		.amdhsa_user_sgpr_count 15
		.amdhsa_user_sgpr_dispatch_ptr 0
		.amdhsa_user_sgpr_queue_ptr 0
		.amdhsa_user_sgpr_kernarg_segment_ptr 1
		.amdhsa_user_sgpr_dispatch_id 0
		.amdhsa_user_sgpr_private_segment_size 0
		.amdhsa_wavefront_size32 1
		.amdhsa_uses_dynamic_stack 0
		.amdhsa_enable_private_segment 0
		.amdhsa_system_sgpr_workgroup_id_x 1
		.amdhsa_system_sgpr_workgroup_id_y 0
		.amdhsa_system_sgpr_workgroup_id_z 0
		.amdhsa_system_sgpr_workgroup_info 0
		.amdhsa_system_vgpr_workitem_id 0
		.amdhsa_next_free_vgpr 9
		.amdhsa_next_free_sgpr 16
		.amdhsa_reserve_vcc 1
		.amdhsa_float_round_mode_32 0
		.amdhsa_float_round_mode_16_64 0
		.amdhsa_float_denorm_mode_32 3
		.amdhsa_float_denorm_mode_16_64 3
		.amdhsa_dx10_clamp 1
		.amdhsa_ieee_mode 1
		.amdhsa_fp16_overflow 0
		.amdhsa_workgroup_processor_mode 1
		.amdhsa_memory_ordered 1
		.amdhsa_forward_progress 0
		.amdhsa_shared_vgpr_count 0
		.amdhsa_exception_fp_ieee_invalid_op 0
		.amdhsa_exception_fp_denorm_src 0
		.amdhsa_exception_fp_ieee_div_zero 0
		.amdhsa_exception_fp_ieee_overflow 0
		.amdhsa_exception_fp_ieee_underflow 0
		.amdhsa_exception_fp_ieee_inexact 0
		.amdhsa_exception_int_div_zero 0
	.end_amdhsa_kernel
	.section	.text._Z6kernelI23warp_striped_to_blockediLj256ELj2ELj100EEvPKT0_PKjPS1_,"axG",@progbits,_Z6kernelI23warp_striped_to_blockediLj256ELj2ELj100EEvPKT0_PKjPS1_,comdat
.Lfunc_end91:
	.size	_Z6kernelI23warp_striped_to_blockediLj256ELj2ELj100EEvPKT0_PKjPS1_, .Lfunc_end91-_Z6kernelI23warp_striped_to_blockediLj256ELj2ELj100EEvPKT0_PKjPS1_
                                        ; -- End function
	.section	.AMDGPU.csdata,"",@progbits
; Kernel info:
; codeLenInByte = 300
; NumSgprs: 18
; NumVgprs: 9
; ScratchSize: 0
; MemoryBound: 0
; FloatMode: 240
; IeeeMode: 1
; LDSByteSize: 2112 bytes/workgroup (compile time only)
; SGPRBlocks: 2
; VGPRBlocks: 1
; NumSGPRsForWavesPerEU: 18
; NumVGPRsForWavesPerEU: 9
; Occupancy: 16
; WaveLimiterHint : 1
; COMPUTE_PGM_RSRC2:SCRATCH_EN: 0
; COMPUTE_PGM_RSRC2:USER_SGPR: 15
; COMPUTE_PGM_RSRC2:TRAP_HANDLER: 0
; COMPUTE_PGM_RSRC2:TGID_X_EN: 1
; COMPUTE_PGM_RSRC2:TGID_Y_EN: 0
; COMPUTE_PGM_RSRC2:TGID_Z_EN: 0
; COMPUTE_PGM_RSRC2:TIDIG_COMP_CNT: 0
	.section	.text._Z6kernelI23warp_striped_to_blockediLj256ELj3ELj100EEvPKT0_PKjPS1_,"axG",@progbits,_Z6kernelI23warp_striped_to_blockediLj256ELj3ELj100EEvPKT0_PKjPS1_,comdat
	.protected	_Z6kernelI23warp_striped_to_blockediLj256ELj3ELj100EEvPKT0_PKjPS1_ ; -- Begin function _Z6kernelI23warp_striped_to_blockediLj256ELj3ELj100EEvPKT0_PKjPS1_
	.globl	_Z6kernelI23warp_striped_to_blockediLj256ELj3ELj100EEvPKT0_PKjPS1_
	.p2align	8
	.type	_Z6kernelI23warp_striped_to_blockediLj256ELj3ELj100EEvPKT0_PKjPS1_,@function
_Z6kernelI23warp_striped_to_blockediLj256ELj3ELj100EEvPKT0_PKjPS1_: ; @_Z6kernelI23warp_striped_to_blockediLj256ELj3ELj100EEvPKT0_PKjPS1_
; %bb.0:
	s_load_b64 s[4:5], s[0:1], 0x0
	v_and_b32_e32 v1, 0xe0, v0
	v_mbcnt_lo_u32_b32 v5, -1, 0
	s_mov_b32 s3, 0
	s_mul_i32 s2, s15, 0x300
	s_delay_alu instid0(VALU_DEP_2) | instskip(NEXT) | instid1(VALU_DEP_2)
	v_mul_u32_u24_e32 v1, 3, v1
	v_lshlrev_b32_e32 v6, 2, v5
	s_lshl_b64 s[2:3], s[2:3], 2
	v_mul_u32_u24_e32 v5, 3, v5
	s_delay_alu instid0(VALU_DEP_3) | instskip(SKIP_4) | instid1(VALU_DEP_1)
	v_lshlrev_b32_e32 v1, 2, v1
	s_waitcnt lgkmcnt(0)
	s_add_u32 s4, s4, s2
	s_addc_u32 s5, s5, s3
	v_add_co_u32 v2, s4, s4, v6
	v_add_co_ci_u32_e64 v4, null, s5, 0, s4
	s_movk_i32 s4, 0x64
	s_delay_alu instid0(VALU_DEP_2) | instskip(NEXT) | instid1(VALU_DEP_2)
	v_add_co_u32 v3, vcc_lo, v2, v1
	v_add_co_ci_u32_e32 v4, vcc_lo, 0, v4, vcc_lo
	s_clause 0x2
	global_load_b32 v1, v[3:4], off
	global_load_b32 v2, v[3:4], off offset:128
	global_load_b32 v3, v[3:4], off offset:256
	v_lshrrev_b32_e32 v4, 5, v0
	s_delay_alu instid0(VALU_DEP_1) | instskip(NEXT) | instid1(VALU_DEP_1)
	v_mul_u32_u24_e32 v7, 0x60, v4
	v_lshl_or_b32 v4, v7, 2, v6
	v_add_lshl_u32 v5, v5, v7, 2
.LBB92_1:                               ; =>This Inner Loop Header: Depth=1
	s_waitcnt vmcnt(1)
	ds_store_2addr_b32 v4, v1, v2 offset1:32
	s_waitcnt vmcnt(0)
	ds_store_b32 v4, v3 offset:256
	; wave barrier
	ds_load_2addr_b32 v[1:2], v5 offset1:1
	ds_load_b32 v3, v5 offset:8
	s_add_i32 s4, s4, -1
	s_waitcnt lgkmcnt(0)
	s_cmp_lg_u32 s4, 0
	s_barrier
	buffer_gl0_inv
	s_cbranch_scc1 .LBB92_1
; %bb.2:
	s_load_b64 s[0:1], s[0:1], 0x10
	v_mul_u32_u24_e32 v0, 3, v0
	s_delay_alu instid0(VALU_DEP_1)
	v_lshlrev_b32_e32 v0, 2, v0
	s_waitcnt lgkmcnt(0)
	s_add_u32 s0, s0, s2
	s_addc_u32 s1, s1, s3
	global_store_b96 v0, v[1:3], s[0:1]
	s_nop 0
	s_sendmsg sendmsg(MSG_DEALLOC_VGPRS)
	s_endpgm
	.section	.rodata,"a",@progbits
	.p2align	6, 0x0
	.amdhsa_kernel _Z6kernelI23warp_striped_to_blockediLj256ELj3ELj100EEvPKT0_PKjPS1_
		.amdhsa_group_segment_fixed_size 3072
		.amdhsa_private_segment_fixed_size 0
		.amdhsa_kernarg_size 24
		.amdhsa_user_sgpr_count 15
		.amdhsa_user_sgpr_dispatch_ptr 0
		.amdhsa_user_sgpr_queue_ptr 0
		.amdhsa_user_sgpr_kernarg_segment_ptr 1
		.amdhsa_user_sgpr_dispatch_id 0
		.amdhsa_user_sgpr_private_segment_size 0
		.amdhsa_wavefront_size32 1
		.amdhsa_uses_dynamic_stack 0
		.amdhsa_enable_private_segment 0
		.amdhsa_system_sgpr_workgroup_id_x 1
		.amdhsa_system_sgpr_workgroup_id_y 0
		.amdhsa_system_sgpr_workgroup_id_z 0
		.amdhsa_system_sgpr_workgroup_info 0
		.amdhsa_system_vgpr_workitem_id 0
		.amdhsa_next_free_vgpr 8
		.amdhsa_next_free_sgpr 16
		.amdhsa_reserve_vcc 1
		.amdhsa_float_round_mode_32 0
		.amdhsa_float_round_mode_16_64 0
		.amdhsa_float_denorm_mode_32 3
		.amdhsa_float_denorm_mode_16_64 3
		.amdhsa_dx10_clamp 1
		.amdhsa_ieee_mode 1
		.amdhsa_fp16_overflow 0
		.amdhsa_workgroup_processor_mode 1
		.amdhsa_memory_ordered 1
		.amdhsa_forward_progress 0
		.amdhsa_shared_vgpr_count 0
		.amdhsa_exception_fp_ieee_invalid_op 0
		.amdhsa_exception_fp_denorm_src 0
		.amdhsa_exception_fp_ieee_div_zero 0
		.amdhsa_exception_fp_ieee_overflow 0
		.amdhsa_exception_fp_ieee_underflow 0
		.amdhsa_exception_fp_ieee_inexact 0
		.amdhsa_exception_int_div_zero 0
	.end_amdhsa_kernel
	.section	.text._Z6kernelI23warp_striped_to_blockediLj256ELj3ELj100EEvPKT0_PKjPS1_,"axG",@progbits,_Z6kernelI23warp_striped_to_blockediLj256ELj3ELj100EEvPKT0_PKjPS1_,comdat
.Lfunc_end92:
	.size	_Z6kernelI23warp_striped_to_blockediLj256ELj3ELj100EEvPKT0_PKjPS1_, .Lfunc_end92-_Z6kernelI23warp_striped_to_blockediLj256ELj3ELj100EEvPKT0_PKjPS1_
                                        ; -- End function
	.section	.AMDGPU.csdata,"",@progbits
; Kernel info:
; codeLenInByte = 292
; NumSgprs: 18
; NumVgprs: 8
; ScratchSize: 0
; MemoryBound: 0
; FloatMode: 240
; IeeeMode: 1
; LDSByteSize: 3072 bytes/workgroup (compile time only)
; SGPRBlocks: 2
; VGPRBlocks: 0
; NumSGPRsForWavesPerEU: 18
; NumVGPRsForWavesPerEU: 8
; Occupancy: 16
; WaveLimiterHint : 1
; COMPUTE_PGM_RSRC2:SCRATCH_EN: 0
; COMPUTE_PGM_RSRC2:USER_SGPR: 15
; COMPUTE_PGM_RSRC2:TRAP_HANDLER: 0
; COMPUTE_PGM_RSRC2:TGID_X_EN: 1
; COMPUTE_PGM_RSRC2:TGID_Y_EN: 0
; COMPUTE_PGM_RSRC2:TGID_Z_EN: 0
; COMPUTE_PGM_RSRC2:TIDIG_COMP_CNT: 0
	.section	.text._Z6kernelI23warp_striped_to_blockediLj256ELj4ELj100EEvPKT0_PKjPS1_,"axG",@progbits,_Z6kernelI23warp_striped_to_blockediLj256ELj4ELj100EEvPKT0_PKjPS1_,comdat
	.protected	_Z6kernelI23warp_striped_to_blockediLj256ELj4ELj100EEvPKT0_PKjPS1_ ; -- Begin function _Z6kernelI23warp_striped_to_blockediLj256ELj4ELj100EEvPKT0_PKjPS1_
	.globl	_Z6kernelI23warp_striped_to_blockediLj256ELj4ELj100EEvPKT0_PKjPS1_
	.p2align	8
	.type	_Z6kernelI23warp_striped_to_blockediLj256ELj4ELj100EEvPKT0_PKjPS1_,@function
_Z6kernelI23warp_striped_to_blockediLj256ELj4ELj100EEvPKT0_PKjPS1_: ; @_Z6kernelI23warp_striped_to_blockediLj256ELj4ELj100EEvPKT0_PKjPS1_
; %bb.0:
	s_load_b64 s[4:5], s[0:1], 0x0
	v_lshlrev_b32_e32 v5, 2, v0
	v_mbcnt_lo_u32_b32 v8, -1, 0
	s_mov_b32 s3, 0
	s_lshl_b32 s2, s15, 10
	s_delay_alu instid0(VALU_DEP_2) | instskip(NEXT) | instid1(VALU_DEP_2)
	v_and_b32_e32 v9, 0x380, v5
	v_lshlrev_b32_e32 v1, 2, v8
	s_lshl_b64 s[2:3], s[2:3], 2
	v_and_or_b32 v0, 0xe0, v0, v8
	s_delay_alu instid0(VALU_DEP_3) | instskip(SKIP_2) | instid1(VALU_DEP_4)
	v_lshlrev_b32_e32 v2, 2, v9
	v_or_b32_e32 v10, 32, v9
	v_or_b32_e32 v11, 64, v9
	v_bfe_u32 v12, v0, 3, 27
	s_waitcnt lgkmcnt(0)
	s_add_u32 s4, s4, s2
	s_addc_u32 s5, s5, s3
	v_add_co_u32 v1, s4, s4, v1
	s_delay_alu instid0(VALU_DEP_1) | instskip(SKIP_1) | instid1(VALU_DEP_2)
	v_add_co_ci_u32_e64 v3, null, s5, 0, s4
	s_movk_i32 s4, 0x64
	v_add_co_u32 v6, vcc_lo, v1, v2
	s_delay_alu instid0(VALU_DEP_2)
	v_add_co_ci_u32_e32 v7, vcc_lo, 0, v3, vcc_lo
	s_clause 0x3
	global_load_b32 v1, v[6:7], off
	global_load_b32 v2, v[6:7], off offset:128
	global_load_b32 v3, v[6:7], off offset:256
	;; [unrolled: 1-line block ×3, first 2 shown]
	v_or_b32_e32 v6, v8, v9
	v_lshrrev_b32_e32 v7, 3, v9
	v_or_b32_e32 v9, 0x60, v9
	s_delay_alu instid0(VALU_DEP_3) | instskip(SKIP_2) | instid1(VALU_DEP_4)
	v_lshlrev_b32_e32 v8, 2, v6
	v_lshrrev_b32_e32 v6, 3, v10
	v_lshrrev_b32_e32 v10, 3, v11
	;; [unrolled: 1-line block ×3, first 2 shown]
	v_lshlrev_b32_e32 v11, 2, v0
	v_add_nc_u32_e32 v0, v7, v8
	v_add_nc_u32_e32 v6, v6, v8
	v_add_nc_u32_e32 v7, v10, v8
	v_add_nc_u32_e32 v8, v9, v8
	v_add_lshl_u32 v9, v12, v11, 2
.LBB93_1:                               ; =>This Inner Loop Header: Depth=1
	s_waitcnt vmcnt(3)
	ds_store_b32 v0, v1
	s_waitcnt vmcnt(2)
	ds_store_b32 v6, v2 offset:128
	s_waitcnt vmcnt(1)
	ds_store_b32 v7, v3 offset:256
	;; [unrolled: 2-line block ×3, first 2 shown]
	; wave barrier
	ds_load_2addr_b32 v[1:2], v9 offset1:1
	ds_load_2addr_b32 v[3:4], v9 offset0:2 offset1:3
	s_add_i32 s4, s4, -1
	s_waitcnt lgkmcnt(0)
	s_cmp_lg_u32 s4, 0
	s_barrier
	buffer_gl0_inv
	s_cbranch_scc1 .LBB93_1
; %bb.2:
	s_load_b64 s[0:1], s[0:1], 0x10
	v_lshlrev_b32_e32 v0, 2, v5
	s_waitcnt lgkmcnt(0)
	s_add_u32 s0, s0, s2
	s_addc_u32 s1, s1, s3
	global_store_b128 v0, v[1:4], s[0:1]
	s_nop 0
	s_sendmsg sendmsg(MSG_DEALLOC_VGPRS)
	s_endpgm
	.section	.rodata,"a",@progbits
	.p2align	6, 0x0
	.amdhsa_kernel _Z6kernelI23warp_striped_to_blockediLj256ELj4ELj100EEvPKT0_PKjPS1_
		.amdhsa_group_segment_fixed_size 4224
		.amdhsa_private_segment_fixed_size 0
		.amdhsa_kernarg_size 24
		.amdhsa_user_sgpr_count 15
		.amdhsa_user_sgpr_dispatch_ptr 0
		.amdhsa_user_sgpr_queue_ptr 0
		.amdhsa_user_sgpr_kernarg_segment_ptr 1
		.amdhsa_user_sgpr_dispatch_id 0
		.amdhsa_user_sgpr_private_segment_size 0
		.amdhsa_wavefront_size32 1
		.amdhsa_uses_dynamic_stack 0
		.amdhsa_enable_private_segment 0
		.amdhsa_system_sgpr_workgroup_id_x 1
		.amdhsa_system_sgpr_workgroup_id_y 0
		.amdhsa_system_sgpr_workgroup_id_z 0
		.amdhsa_system_sgpr_workgroup_info 0
		.amdhsa_system_vgpr_workitem_id 0
		.amdhsa_next_free_vgpr 13
		.amdhsa_next_free_sgpr 16
		.amdhsa_reserve_vcc 1
		.amdhsa_float_round_mode_32 0
		.amdhsa_float_round_mode_16_64 0
		.amdhsa_float_denorm_mode_32 3
		.amdhsa_float_denorm_mode_16_64 3
		.amdhsa_dx10_clamp 1
		.amdhsa_ieee_mode 1
		.amdhsa_fp16_overflow 0
		.amdhsa_workgroup_processor_mode 1
		.amdhsa_memory_ordered 1
		.amdhsa_forward_progress 0
		.amdhsa_shared_vgpr_count 0
		.amdhsa_exception_fp_ieee_invalid_op 0
		.amdhsa_exception_fp_denorm_src 0
		.amdhsa_exception_fp_ieee_div_zero 0
		.amdhsa_exception_fp_ieee_overflow 0
		.amdhsa_exception_fp_ieee_underflow 0
		.amdhsa_exception_fp_ieee_inexact 0
		.amdhsa_exception_int_div_zero 0
	.end_amdhsa_kernel
	.section	.text._Z6kernelI23warp_striped_to_blockediLj256ELj4ELj100EEvPKT0_PKjPS1_,"axG",@progbits,_Z6kernelI23warp_striped_to_blockediLj256ELj4ELj100EEvPKT0_PKjPS1_,comdat
.Lfunc_end93:
	.size	_Z6kernelI23warp_striped_to_blockediLj256ELj4ELj100EEvPKT0_PKjPS1_, .Lfunc_end93-_Z6kernelI23warp_striped_to_blockediLj256ELj4ELj100EEvPKT0_PKjPS1_
                                        ; -- End function
	.section	.AMDGPU.csdata,"",@progbits
; Kernel info:
; codeLenInByte = 372
; NumSgprs: 18
; NumVgprs: 13
; ScratchSize: 0
; MemoryBound: 0
; FloatMode: 240
; IeeeMode: 1
; LDSByteSize: 4224 bytes/workgroup (compile time only)
; SGPRBlocks: 2
; VGPRBlocks: 1
; NumSGPRsForWavesPerEU: 18
; NumVGPRsForWavesPerEU: 13
; Occupancy: 16
; WaveLimiterHint : 1
; COMPUTE_PGM_RSRC2:SCRATCH_EN: 0
; COMPUTE_PGM_RSRC2:USER_SGPR: 15
; COMPUTE_PGM_RSRC2:TRAP_HANDLER: 0
; COMPUTE_PGM_RSRC2:TGID_X_EN: 1
; COMPUTE_PGM_RSRC2:TGID_Y_EN: 0
; COMPUTE_PGM_RSRC2:TGID_Z_EN: 0
; COMPUTE_PGM_RSRC2:TIDIG_COMP_CNT: 0
	.section	.text._Z6kernelI23warp_striped_to_blockediLj256ELj7ELj100EEvPKT0_PKjPS1_,"axG",@progbits,_Z6kernelI23warp_striped_to_blockediLj256ELj7ELj100EEvPKT0_PKjPS1_,comdat
	.protected	_Z6kernelI23warp_striped_to_blockediLj256ELj7ELj100EEvPKT0_PKjPS1_ ; -- Begin function _Z6kernelI23warp_striped_to_blockediLj256ELj7ELj100EEvPKT0_PKjPS1_
	.globl	_Z6kernelI23warp_striped_to_blockediLj256ELj7ELj100EEvPKT0_PKjPS1_
	.p2align	8
	.type	_Z6kernelI23warp_striped_to_blockediLj256ELj7ELj100EEvPKT0_PKjPS1_,@function
_Z6kernelI23warp_striped_to_blockediLj256ELj7ELj100EEvPKT0_PKjPS1_: ; @_Z6kernelI23warp_striped_to_blockediLj256ELj7ELj100EEvPKT0_PKjPS1_
; %bb.0:
	s_load_b64 s[4:5], s[0:1], 0x0
	v_and_b32_e32 v1, 0xe0, v0
	v_mbcnt_lo_u32_b32 v9, -1, 0
	s_mov_b32 s3, 0
	s_mul_i32 s2, s15, 0x700
	s_delay_alu instid0(VALU_DEP_2) | instskip(NEXT) | instid1(VALU_DEP_2)
	v_mul_u32_u24_e32 v1, 7, v1
	v_lshlrev_b32_e32 v10, 2, v9
	s_lshl_b64 s[2:3], s[2:3], 2
	v_mul_u32_u24_e32 v9, 7, v9
	s_delay_alu instid0(VALU_DEP_3) | instskip(SKIP_4) | instid1(VALU_DEP_1)
	v_lshlrev_b32_e32 v1, 2, v1
	s_waitcnt lgkmcnt(0)
	s_add_u32 s4, s4, s2
	s_addc_u32 s5, s5, s3
	v_add_co_u32 v2, s4, s4, v10
	v_add_co_ci_u32_e64 v3, null, s5, 0, s4
	s_movk_i32 s4, 0x64
	s_delay_alu instid0(VALU_DEP_2) | instskip(NEXT) | instid1(VALU_DEP_2)
	v_add_co_u32 v7, vcc_lo, v2, v1
	v_add_co_ci_u32_e32 v8, vcc_lo, 0, v3, vcc_lo
	s_clause 0x6
	global_load_b32 v1, v[7:8], off
	global_load_b32 v2, v[7:8], off offset:128
	global_load_b32 v3, v[7:8], off offset:256
	;; [unrolled: 1-line block ×6, first 2 shown]
	v_lshrrev_b32_e32 v8, 5, v0
	s_delay_alu instid0(VALU_DEP_1) | instskip(NEXT) | instid1(VALU_DEP_1)
	v_mul_u32_u24_e32 v11, 0xe0, v8
	v_lshl_or_b32 v8, v11, 2, v10
	v_add_lshl_u32 v9, v9, v11, 2
	.p2align	6
.LBB94_1:                               ; =>This Inner Loop Header: Depth=1
	s_waitcnt vmcnt(5)
	ds_store_2addr_b32 v8, v1, v2 offset1:32
	s_waitcnt vmcnt(3)
	ds_store_2addr_b32 v8, v3, v4 offset0:64 offset1:96
	s_waitcnt vmcnt(1)
	ds_store_2addr_b32 v8, v5, v6 offset0:128 offset1:160
	s_waitcnt vmcnt(0)
	ds_store_b32 v8, v7 offset:768
	; wave barrier
	ds_load_2addr_b32 v[1:2], v9 offset1:1
	ds_load_2addr_b32 v[3:4], v9 offset0:2 offset1:3
	ds_load_2addr_b32 v[5:6], v9 offset0:4 offset1:5
	ds_load_b32 v7, v9 offset:24
	s_add_i32 s4, s4, -1
	s_waitcnt lgkmcnt(0)
	s_cmp_lg_u32 s4, 0
	s_barrier
	buffer_gl0_inv
	s_cbranch_scc1 .LBB94_1
; %bb.2:
	s_load_b64 s[0:1], s[0:1], 0x10
	v_mul_u32_u24_e32 v0, 7, v0
	s_delay_alu instid0(VALU_DEP_1)
	v_lshlrev_b32_e32 v0, 2, v0
	s_waitcnt lgkmcnt(0)
	s_add_u32 s0, s0, s2
	s_addc_u32 s1, s1, s3
	s_clause 0x1
	global_store_b128 v0, v[1:4], s[0:1]
	global_store_b96 v0, v[5:7], s[0:1] offset:16
	s_nop 0
	s_sendmsg sendmsg(MSG_DEALLOC_VGPRS)
	s_endpgm
	.section	.rodata,"a",@progbits
	.p2align	6, 0x0
	.amdhsa_kernel _Z6kernelI23warp_striped_to_blockediLj256ELj7ELj100EEvPKT0_PKjPS1_
		.amdhsa_group_segment_fixed_size 7168
		.amdhsa_private_segment_fixed_size 0
		.amdhsa_kernarg_size 24
		.amdhsa_user_sgpr_count 15
		.amdhsa_user_sgpr_dispatch_ptr 0
		.amdhsa_user_sgpr_queue_ptr 0
		.amdhsa_user_sgpr_kernarg_segment_ptr 1
		.amdhsa_user_sgpr_dispatch_id 0
		.amdhsa_user_sgpr_private_segment_size 0
		.amdhsa_wavefront_size32 1
		.amdhsa_uses_dynamic_stack 0
		.amdhsa_enable_private_segment 0
		.amdhsa_system_sgpr_workgroup_id_x 1
		.amdhsa_system_sgpr_workgroup_id_y 0
		.amdhsa_system_sgpr_workgroup_id_z 0
		.amdhsa_system_sgpr_workgroup_info 0
		.amdhsa_system_vgpr_workitem_id 0
		.amdhsa_next_free_vgpr 12
		.amdhsa_next_free_sgpr 16
		.amdhsa_reserve_vcc 1
		.amdhsa_float_round_mode_32 0
		.amdhsa_float_round_mode_16_64 0
		.amdhsa_float_denorm_mode_32 3
		.amdhsa_float_denorm_mode_16_64 3
		.amdhsa_dx10_clamp 1
		.amdhsa_ieee_mode 1
		.amdhsa_fp16_overflow 0
		.amdhsa_workgroup_processor_mode 1
		.amdhsa_memory_ordered 1
		.amdhsa_forward_progress 0
		.amdhsa_shared_vgpr_count 0
		.amdhsa_exception_fp_ieee_invalid_op 0
		.amdhsa_exception_fp_denorm_src 0
		.amdhsa_exception_fp_ieee_div_zero 0
		.amdhsa_exception_fp_ieee_overflow 0
		.amdhsa_exception_fp_ieee_underflow 0
		.amdhsa_exception_fp_ieee_inexact 0
		.amdhsa_exception_int_div_zero 0
	.end_amdhsa_kernel
	.section	.text._Z6kernelI23warp_striped_to_blockediLj256ELj7ELj100EEvPKT0_PKjPS1_,"axG",@progbits,_Z6kernelI23warp_striped_to_blockediLj256ELj7ELj100EEvPKT0_PKjPS1_,comdat
.Lfunc_end94:
	.size	_Z6kernelI23warp_striped_to_blockediLj256ELj7ELj100EEvPKT0_PKjPS1_, .Lfunc_end94-_Z6kernelI23warp_striped_to_blockediLj256ELj7ELj100EEvPKT0_PKjPS1_
                                        ; -- End function
	.section	.AMDGPU.csdata,"",@progbits
; Kernel info:
; codeLenInByte = 376
; NumSgprs: 18
; NumVgprs: 12
; ScratchSize: 0
; MemoryBound: 0
; FloatMode: 240
; IeeeMode: 1
; LDSByteSize: 7168 bytes/workgroup (compile time only)
; SGPRBlocks: 2
; VGPRBlocks: 1
; NumSGPRsForWavesPerEU: 18
; NumVGPRsForWavesPerEU: 12
; Occupancy: 16
; WaveLimiterHint : 1
; COMPUTE_PGM_RSRC2:SCRATCH_EN: 0
; COMPUTE_PGM_RSRC2:USER_SGPR: 15
; COMPUTE_PGM_RSRC2:TRAP_HANDLER: 0
; COMPUTE_PGM_RSRC2:TGID_X_EN: 1
; COMPUTE_PGM_RSRC2:TGID_Y_EN: 0
; COMPUTE_PGM_RSRC2:TGID_Z_EN: 0
; COMPUTE_PGM_RSRC2:TIDIG_COMP_CNT: 0
	.section	.text._Z6kernelI23warp_striped_to_blockediLj256ELj8ELj100EEvPKT0_PKjPS1_,"axG",@progbits,_Z6kernelI23warp_striped_to_blockediLj256ELj8ELj100EEvPKT0_PKjPS1_,comdat
	.protected	_Z6kernelI23warp_striped_to_blockediLj256ELj8ELj100EEvPKT0_PKjPS1_ ; -- Begin function _Z6kernelI23warp_striped_to_blockediLj256ELj8ELj100EEvPKT0_PKjPS1_
	.globl	_Z6kernelI23warp_striped_to_blockediLj256ELj8ELj100EEvPKT0_PKjPS1_
	.p2align	8
	.type	_Z6kernelI23warp_striped_to_blockediLj256ELj8ELj100EEvPKT0_PKjPS1_,@function
_Z6kernelI23warp_striped_to_blockediLj256ELj8ELj100EEvPKT0_PKjPS1_: ; @_Z6kernelI23warp_striped_to_blockediLj256ELj8ELj100EEvPKT0_PKjPS1_
; %bb.0:
	s_load_b64 s[4:5], s[0:1], 0x0
	v_lshlrev_b32_e32 v9, 3, v0
	v_mbcnt_lo_u32_b32 v14, -1, 0
	s_mov_b32 s3, 0
	s_lshl_b32 s2, s15, 11
	s_delay_alu instid0(VALU_DEP_2) | instskip(NEXT) | instid1(VALU_DEP_2)
	v_and_b32_e32 v15, 0x700, v9
	v_lshlrev_b32_e32 v1, 2, v14
	s_lshl_b64 s[2:3], s[2:3], 2
	v_and_or_b32 v0, 0xe0, v0, v14
	s_delay_alu instid0(VALU_DEP_3)
	v_lshlrev_b32_e32 v2, 2, v15
	v_lshrrev_b32_e32 v16, 3, v15
	v_or_b32_e32 v12, 64, v15
	v_or_b32_e32 v13, 0x60, v15
	;; [unrolled: 1-line block ×4, first 2 shown]
	v_lshlrev_b32_e32 v20, 3, v0
	v_lshrrev_b32_e32 v12, 3, v12
	v_lshrrev_b32_e32 v13, 3, v13
	s_waitcnt lgkmcnt(0)
	s_add_u32 s4, s4, s2
	s_addc_u32 s5, s5, s3
	v_add_co_u32 v1, s4, s4, v1
	s_delay_alu instid0(VALU_DEP_1) | instskip(SKIP_1) | instid1(VALU_DEP_3)
	v_add_co_ci_u32_e64 v3, null, s5, 0, s4
	v_bfe_u32 v21, v0, 2, 27
	v_add_co_u32 v10, vcc_lo, v1, v2
	s_delay_alu instid0(VALU_DEP_3)
	v_add_co_ci_u32_e32 v11, vcc_lo, 0, v3, vcc_lo
	s_movk_i32 s4, 0x64
	s_clause 0x7
	global_load_b32 v5, v[10:11], off
	global_load_b32 v6, v[10:11], off offset:128
	global_load_b32 v7, v[10:11], off offset:256
	;; [unrolled: 1-line block ×7, first 2 shown]
	v_or_b32_e32 v10, v14, v15
	v_or_b32_e32 v11, 32, v15
	s_delay_alu instid0(VALU_DEP_2) | instskip(NEXT) | instid1(VALU_DEP_2)
	v_lshlrev_b32_e32 v17, 2, v10
	v_lshrrev_b32_e32 v11, 3, v11
	s_delay_alu instid0(VALU_DEP_2) | instskip(SKIP_2) | instid1(VALU_DEP_4)
	v_add_nc_u32_e32 v10, v16, v17
	v_or_b32_e32 v16, 0x80, v15
	v_or_b32_e32 v15, 0xe0, v15
	v_add_nc_u32_e32 v11, v11, v17
	v_add_nc_u32_e32 v12, v12, v17
	;; [unrolled: 1-line block ×3, first 2 shown]
	v_lshrrev_b32_e32 v14, 3, v16
	v_lshrrev_b32_e32 v16, 3, v18
	;; [unrolled: 1-line block ×4, first 2 shown]
	s_delay_alu instid0(VALU_DEP_4) | instskip(NEXT) | instid1(VALU_DEP_4)
	v_add_nc_u32_e32 v0, v14, v17
	v_add_nc_u32_e32 v14, v16, v17
	s_delay_alu instid0(VALU_DEP_4) | instskip(NEXT) | instid1(VALU_DEP_4)
	v_add_nc_u32_e32 v15, v18, v17
	v_add_nc_u32_e32 v16, v19, v17
	v_add_lshl_u32 v17, v21, v20, 2
	.p2align	6
.LBB95_1:                               ; =>This Inner Loop Header: Depth=1
	s_waitcnt vmcnt(7)
	ds_store_b32 v10, v5
	s_waitcnt vmcnt(6)
	ds_store_b32 v11, v6 offset:128
	s_waitcnt vmcnt(5)
	ds_store_b32 v12, v7 offset:256
	;; [unrolled: 2-line block ×7, first 2 shown]
	; wave barrier
	ds_load_2addr_b32 v[5:6], v17 offset1:1
	ds_load_2addr_b32 v[7:8], v17 offset0:2 offset1:3
	ds_load_2addr_b32 v[1:2], v17 offset0:4 offset1:5
	;; [unrolled: 1-line block ×3, first 2 shown]
	s_add_i32 s4, s4, -1
	s_waitcnt lgkmcnt(0)
	s_cmp_lg_u32 s4, 0
	s_barrier
	buffer_gl0_inv
	s_cbranch_scc1 .LBB95_1
; %bb.2:
	s_load_b64 s[0:1], s[0:1], 0x10
	v_lshlrev_b32_e32 v0, 2, v9
	s_waitcnt lgkmcnt(0)
	s_add_u32 s0, s0, s2
	s_addc_u32 s1, s1, s3
	s_clause 0x1
	global_store_b128 v0, v[5:8], s[0:1]
	global_store_b128 v0, v[1:4], s[0:1] offset:16
	s_nop 0
	s_sendmsg sendmsg(MSG_DEALLOC_VGPRS)
	s_endpgm
	.section	.rodata,"a",@progbits
	.p2align	6, 0x0
	.amdhsa_kernel _Z6kernelI23warp_striped_to_blockediLj256ELj8ELj100EEvPKT0_PKjPS1_
		.amdhsa_group_segment_fixed_size 8448
		.amdhsa_private_segment_fixed_size 0
		.amdhsa_kernarg_size 24
		.amdhsa_user_sgpr_count 15
		.amdhsa_user_sgpr_dispatch_ptr 0
		.amdhsa_user_sgpr_queue_ptr 0
		.amdhsa_user_sgpr_kernarg_segment_ptr 1
		.amdhsa_user_sgpr_dispatch_id 0
		.amdhsa_user_sgpr_private_segment_size 0
		.amdhsa_wavefront_size32 1
		.amdhsa_uses_dynamic_stack 0
		.amdhsa_enable_private_segment 0
		.amdhsa_system_sgpr_workgroup_id_x 1
		.amdhsa_system_sgpr_workgroup_id_y 0
		.amdhsa_system_sgpr_workgroup_id_z 0
		.amdhsa_system_sgpr_workgroup_info 0
		.amdhsa_system_vgpr_workitem_id 0
		.amdhsa_next_free_vgpr 22
		.amdhsa_next_free_sgpr 16
		.amdhsa_reserve_vcc 1
		.amdhsa_float_round_mode_32 0
		.amdhsa_float_round_mode_16_64 0
		.amdhsa_float_denorm_mode_32 3
		.amdhsa_float_denorm_mode_16_64 3
		.amdhsa_dx10_clamp 1
		.amdhsa_ieee_mode 1
		.amdhsa_fp16_overflow 0
		.amdhsa_workgroup_processor_mode 1
		.amdhsa_memory_ordered 1
		.amdhsa_forward_progress 0
		.amdhsa_shared_vgpr_count 0
		.amdhsa_exception_fp_ieee_invalid_op 0
		.amdhsa_exception_fp_denorm_src 0
		.amdhsa_exception_fp_ieee_div_zero 0
		.amdhsa_exception_fp_ieee_overflow 0
		.amdhsa_exception_fp_ieee_underflow 0
		.amdhsa_exception_fp_ieee_inexact 0
		.amdhsa_exception_int_div_zero 0
	.end_amdhsa_kernel
	.section	.text._Z6kernelI23warp_striped_to_blockediLj256ELj8ELj100EEvPKT0_PKjPS1_,"axG",@progbits,_Z6kernelI23warp_striped_to_blockediLj256ELj8ELj100EEvPKT0_PKjPS1_,comdat
.Lfunc_end95:
	.size	_Z6kernelI23warp_striped_to_blockediLj256ELj8ELj100EEvPKT0_PKjPS1_, .Lfunc_end95-_Z6kernelI23warp_striped_to_blockediLj256ELj8ELj100EEvPKT0_PKjPS1_
                                        ; -- End function
	.section	.AMDGPU.csdata,"",@progbits
; Kernel info:
; codeLenInByte = 556
; NumSgprs: 18
; NumVgprs: 22
; ScratchSize: 0
; MemoryBound: 0
; FloatMode: 240
; IeeeMode: 1
; LDSByteSize: 8448 bytes/workgroup (compile time only)
; SGPRBlocks: 2
; VGPRBlocks: 2
; NumSGPRsForWavesPerEU: 18
; NumVGPRsForWavesPerEU: 22
; Occupancy: 16
; WaveLimiterHint : 1
; COMPUTE_PGM_RSRC2:SCRATCH_EN: 0
; COMPUTE_PGM_RSRC2:USER_SGPR: 15
; COMPUTE_PGM_RSRC2:TRAP_HANDLER: 0
; COMPUTE_PGM_RSRC2:TGID_X_EN: 1
; COMPUTE_PGM_RSRC2:TGID_Y_EN: 0
; COMPUTE_PGM_RSRC2:TGID_Z_EN: 0
; COMPUTE_PGM_RSRC2:TIDIG_COMP_CNT: 0
	.section	.text._Z6kernelI23warp_striped_to_blockedaLj256ELj1ELj100EEvPKT0_PKjPS1_,"axG",@progbits,_Z6kernelI23warp_striped_to_blockedaLj256ELj1ELj100EEvPKT0_PKjPS1_,comdat
	.protected	_Z6kernelI23warp_striped_to_blockedaLj256ELj1ELj100EEvPKT0_PKjPS1_ ; -- Begin function _Z6kernelI23warp_striped_to_blockedaLj256ELj1ELj100EEvPKT0_PKjPS1_
	.globl	_Z6kernelI23warp_striped_to_blockedaLj256ELj1ELj100EEvPKT0_PKjPS1_
	.p2align	8
	.type	_Z6kernelI23warp_striped_to_blockedaLj256ELj1ELj100EEvPKT0_PKjPS1_,@function
_Z6kernelI23warp_striped_to_blockedaLj256ELj1ELj100EEvPKT0_PKjPS1_: ; @_Z6kernelI23warp_striped_to_blockedaLj256ELj1ELj100EEvPKT0_PKjPS1_
; %bb.0:
	s_load_b64 s[4:5], s[0:1], 0x0
	v_mbcnt_lo_u32_b32 v3, -1, 0
	s_lshl_b32 s2, s15, 8
	v_and_b32_e32 v4, 0xe0, v0
	s_waitcnt lgkmcnt(0)
	s_add_u32 s3, s4, s2
	s_addc_u32 s4, s5, 0
	v_add_co_u32 v1, s3, s3, v3
	s_delay_alu instid0(VALU_DEP_1) | instskip(SKIP_1) | instid1(VALU_DEP_2)
	v_add_co_ci_u32_e64 v2, null, s4, 0, s3
	s_movk_i32 s3, 0x64
	v_add_co_u32 v1, vcc_lo, v1, v4
	s_delay_alu instid0(VALU_DEP_2)
	v_add_co_ci_u32_e32 v2, vcc_lo, 0, v2, vcc_lo
	global_load_u8 v1, v[1:2], off
	v_add_nc_u32_e32 v2, v3, v4
.LBB96_1:                               ; =>This Inner Loop Header: Depth=1
	s_waitcnt vmcnt(0)
	ds_store_b8 v2, v1
	; wave barrier
	ds_load_u8 v1, v2
	s_add_i32 s3, s3, -1
	s_waitcnt lgkmcnt(0)
	s_cmp_lg_u32 s3, 0
	s_barrier
	buffer_gl0_inv
	s_cbranch_scc1 .LBB96_1
; %bb.2:
	s_load_b64 s[0:1], s[0:1], 0x10
	s_waitcnt lgkmcnt(0)
	s_add_u32 s0, s0, s2
	s_addc_u32 s1, s1, 0
	global_store_b8 v0, v1, s[0:1]
	s_nop 0
	s_sendmsg sendmsg(MSG_DEALLOC_VGPRS)
	s_endpgm
	.section	.rodata,"a",@progbits
	.p2align	6, 0x0
	.amdhsa_kernel _Z6kernelI23warp_striped_to_blockedaLj256ELj1ELj100EEvPKT0_PKjPS1_
		.amdhsa_group_segment_fixed_size 256
		.amdhsa_private_segment_fixed_size 0
		.amdhsa_kernarg_size 24
		.amdhsa_user_sgpr_count 15
		.amdhsa_user_sgpr_dispatch_ptr 0
		.amdhsa_user_sgpr_queue_ptr 0
		.amdhsa_user_sgpr_kernarg_segment_ptr 1
		.amdhsa_user_sgpr_dispatch_id 0
		.amdhsa_user_sgpr_private_segment_size 0
		.amdhsa_wavefront_size32 1
		.amdhsa_uses_dynamic_stack 0
		.amdhsa_enable_private_segment 0
		.amdhsa_system_sgpr_workgroup_id_x 1
		.amdhsa_system_sgpr_workgroup_id_y 0
		.amdhsa_system_sgpr_workgroup_id_z 0
		.amdhsa_system_sgpr_workgroup_info 0
		.amdhsa_system_vgpr_workitem_id 0
		.amdhsa_next_free_vgpr 5
		.amdhsa_next_free_sgpr 16
		.amdhsa_reserve_vcc 1
		.amdhsa_float_round_mode_32 0
		.amdhsa_float_round_mode_16_64 0
		.amdhsa_float_denorm_mode_32 3
		.amdhsa_float_denorm_mode_16_64 3
		.amdhsa_dx10_clamp 1
		.amdhsa_ieee_mode 1
		.amdhsa_fp16_overflow 0
		.amdhsa_workgroup_processor_mode 1
		.amdhsa_memory_ordered 1
		.amdhsa_forward_progress 0
		.amdhsa_shared_vgpr_count 0
		.amdhsa_exception_fp_ieee_invalid_op 0
		.amdhsa_exception_fp_denorm_src 0
		.amdhsa_exception_fp_ieee_div_zero 0
		.amdhsa_exception_fp_ieee_overflow 0
		.amdhsa_exception_fp_ieee_underflow 0
		.amdhsa_exception_fp_ieee_inexact 0
		.amdhsa_exception_int_div_zero 0
	.end_amdhsa_kernel
	.section	.text._Z6kernelI23warp_striped_to_blockedaLj256ELj1ELj100EEvPKT0_PKjPS1_,"axG",@progbits,_Z6kernelI23warp_striped_to_blockedaLj256ELj1ELj100EEvPKT0_PKjPS1_,comdat
.Lfunc_end96:
	.size	_Z6kernelI23warp_striped_to_blockedaLj256ELj1ELj100EEvPKT0_PKjPS1_, .Lfunc_end96-_Z6kernelI23warp_striped_to_blockedaLj256ELj1ELj100EEvPKT0_PKjPS1_
                                        ; -- End function
	.section	.AMDGPU.csdata,"",@progbits
; Kernel info:
; codeLenInByte = 180
; NumSgprs: 18
; NumVgprs: 5
; ScratchSize: 0
; MemoryBound: 0
; FloatMode: 240
; IeeeMode: 1
; LDSByteSize: 256 bytes/workgroup (compile time only)
; SGPRBlocks: 2
; VGPRBlocks: 0
; NumSGPRsForWavesPerEU: 18
; NumVGPRsForWavesPerEU: 5
; Occupancy: 16
; WaveLimiterHint : 0
; COMPUTE_PGM_RSRC2:SCRATCH_EN: 0
; COMPUTE_PGM_RSRC2:USER_SGPR: 15
; COMPUTE_PGM_RSRC2:TRAP_HANDLER: 0
; COMPUTE_PGM_RSRC2:TGID_X_EN: 1
; COMPUTE_PGM_RSRC2:TGID_Y_EN: 0
; COMPUTE_PGM_RSRC2:TGID_Z_EN: 0
; COMPUTE_PGM_RSRC2:TIDIG_COMP_CNT: 0
	.section	.text._Z6kernelI23warp_striped_to_blockedaLj256ELj2ELj100EEvPKT0_PKjPS1_,"axG",@progbits,_Z6kernelI23warp_striped_to_blockedaLj256ELj2ELj100EEvPKT0_PKjPS1_,comdat
	.protected	_Z6kernelI23warp_striped_to_blockedaLj256ELj2ELj100EEvPKT0_PKjPS1_ ; -- Begin function _Z6kernelI23warp_striped_to_blockedaLj256ELj2ELj100EEvPKT0_PKjPS1_
	.globl	_Z6kernelI23warp_striped_to_blockedaLj256ELj2ELj100EEvPKT0_PKjPS1_
	.p2align	8
	.type	_Z6kernelI23warp_striped_to_blockedaLj256ELj2ELj100EEvPKT0_PKjPS1_,@function
_Z6kernelI23warp_striped_to_blockedaLj256ELj2ELj100EEvPKT0_PKjPS1_: ; @_Z6kernelI23warp_striped_to_blockedaLj256ELj2ELj100EEvPKT0_PKjPS1_
; %bb.0:
	s_load_b64 s[4:5], s[0:1], 0x0
	v_lshlrev_b32_e32 v1, 1, v0
	v_mbcnt_lo_u32_b32 v4, -1, 0
	s_lshl_b32 s2, s15, 9
	s_delay_alu instid0(VALU_DEP_2) | instskip(SKIP_4) | instid1(VALU_DEP_1)
	v_and_b32_e32 v5, 0x1c0, v1
	s_waitcnt lgkmcnt(0)
	s_add_u32 s3, s4, s2
	s_addc_u32 s4, s5, 0
	v_add_co_u32 v2, s3, s3, v4
	v_add_co_ci_u32_e64 v3, null, s4, 0, s3
	s_movk_i32 s3, 0x64
	s_delay_alu instid0(VALU_DEP_2) | instskip(NEXT) | instid1(VALU_DEP_2)
	v_add_co_u32 v2, vcc_lo, v2, v5
	v_add_co_ci_u32_e32 v3, vcc_lo, 0, v3, vcc_lo
	s_clause 0x1
	global_load_u8 v6, v[2:3], off offset:32
	global_load_u8 v2, v[2:3], off
	v_lshrrev_b32_e32 v3, 4, v0
	v_and_or_b32 v0, 0xe0, v0, v4
	v_or_b32_e32 v4, v4, v5
	s_delay_alu instid0(VALU_DEP_3) | instskip(SKIP_3) | instid1(VALU_DEP_1)
	v_and_b32_e32 v3, 12, v3
	s_waitcnt vmcnt(1)
	v_lshlrev_b16 v6, 8, v6
	s_waitcnt vmcnt(0)
	v_or_b32_e32 v6, v2, v6
	v_lshl_add_u32 v2, v0, 1, v3
	v_add_nc_u32_e32 v3, v3, v4
	s_delay_alu instid0(VALU_DEP_3)
	v_and_b32_e32 v0, 0xffff, v6
.LBB97_1:                               ; =>This Inner Loop Header: Depth=1
	s_delay_alu instid0(VALU_DEP_1)
	v_lshrrev_b16 v4, 8, v0
	s_add_i32 s3, s3, -1
	ds_store_b8 v3, v0
	ds_store_b8 v3, v4 offset:32
	; wave barrier
	ds_load_u16 v0, v2
	s_cmp_lg_u32 s3, 0
	s_waitcnt lgkmcnt(0)
	s_barrier
	buffer_gl0_inv
	s_cbranch_scc1 .LBB97_1
; %bb.2:
	s_load_b64 s[0:1], s[0:1], 0x10
	v_lshrrev_b16 v2, 8, v0
	v_and_b32_e32 v0, 0xff, v0
	s_delay_alu instid0(VALU_DEP_2) | instskip(NEXT) | instid1(VALU_DEP_1)
	v_lshlrev_b16 v2, 8, v2
	v_or_b32_e32 v0, v0, v2
	s_waitcnt lgkmcnt(0)
	s_add_u32 s0, s0, s2
	s_addc_u32 s1, s1, 0
	global_store_b16 v1, v0, s[0:1]
	s_nop 0
	s_sendmsg sendmsg(MSG_DEALLOC_VGPRS)
	s_endpgm
	.section	.rodata,"a",@progbits
	.p2align	6, 0x0
	.amdhsa_kernel _Z6kernelI23warp_striped_to_blockedaLj256ELj2ELj100EEvPKT0_PKjPS1_
		.amdhsa_group_segment_fixed_size 528
		.amdhsa_private_segment_fixed_size 0
		.amdhsa_kernarg_size 24
		.amdhsa_user_sgpr_count 15
		.amdhsa_user_sgpr_dispatch_ptr 0
		.amdhsa_user_sgpr_queue_ptr 0
		.amdhsa_user_sgpr_kernarg_segment_ptr 1
		.amdhsa_user_sgpr_dispatch_id 0
		.amdhsa_user_sgpr_private_segment_size 0
		.amdhsa_wavefront_size32 1
		.amdhsa_uses_dynamic_stack 0
		.amdhsa_enable_private_segment 0
		.amdhsa_system_sgpr_workgroup_id_x 1
		.amdhsa_system_sgpr_workgroup_id_y 0
		.amdhsa_system_sgpr_workgroup_id_z 0
		.amdhsa_system_sgpr_workgroup_info 0
		.amdhsa_system_vgpr_workitem_id 0
		.amdhsa_next_free_vgpr 7
		.amdhsa_next_free_sgpr 16
		.amdhsa_reserve_vcc 1
		.amdhsa_float_round_mode_32 0
		.amdhsa_float_round_mode_16_64 0
		.amdhsa_float_denorm_mode_32 3
		.amdhsa_float_denorm_mode_16_64 3
		.amdhsa_dx10_clamp 1
		.amdhsa_ieee_mode 1
		.amdhsa_fp16_overflow 0
		.amdhsa_workgroup_processor_mode 1
		.amdhsa_memory_ordered 1
		.amdhsa_forward_progress 0
		.amdhsa_shared_vgpr_count 0
		.amdhsa_exception_fp_ieee_invalid_op 0
		.amdhsa_exception_fp_denorm_src 0
		.amdhsa_exception_fp_ieee_div_zero 0
		.amdhsa_exception_fp_ieee_overflow 0
		.amdhsa_exception_fp_ieee_underflow 0
		.amdhsa_exception_fp_ieee_inexact 0
		.amdhsa_exception_int_div_zero 0
	.end_amdhsa_kernel
	.section	.text._Z6kernelI23warp_striped_to_blockedaLj256ELj2ELj100EEvPKT0_PKjPS1_,"axG",@progbits,_Z6kernelI23warp_striped_to_blockedaLj256ELj2ELj100EEvPKT0_PKjPS1_,comdat
.Lfunc_end97:
	.size	_Z6kernelI23warp_striped_to_blockedaLj256ELj2ELj100EEvPKT0_PKjPS1_, .Lfunc_end97-_Z6kernelI23warp_striped_to_blockedaLj256ELj2ELj100EEvPKT0_PKjPS1_
                                        ; -- End function
	.section	.AMDGPU.csdata,"",@progbits
; Kernel info:
; codeLenInByte = 312
; NumSgprs: 18
; NumVgprs: 7
; ScratchSize: 0
; MemoryBound: 0
; FloatMode: 240
; IeeeMode: 1
; LDSByteSize: 528 bytes/workgroup (compile time only)
; SGPRBlocks: 2
; VGPRBlocks: 0
; NumSGPRsForWavesPerEU: 18
; NumVGPRsForWavesPerEU: 7
; Occupancy: 16
; WaveLimiterHint : 0
; COMPUTE_PGM_RSRC2:SCRATCH_EN: 0
; COMPUTE_PGM_RSRC2:USER_SGPR: 15
; COMPUTE_PGM_RSRC2:TRAP_HANDLER: 0
; COMPUTE_PGM_RSRC2:TGID_X_EN: 1
; COMPUTE_PGM_RSRC2:TGID_Y_EN: 0
; COMPUTE_PGM_RSRC2:TGID_Z_EN: 0
; COMPUTE_PGM_RSRC2:TIDIG_COMP_CNT: 0
	.section	.text._Z6kernelI23warp_striped_to_blockedaLj256ELj3ELj100EEvPKT0_PKjPS1_,"axG",@progbits,_Z6kernelI23warp_striped_to_blockedaLj256ELj3ELj100EEvPKT0_PKjPS1_,comdat
	.protected	_Z6kernelI23warp_striped_to_blockedaLj256ELj3ELj100EEvPKT0_PKjPS1_ ; -- Begin function _Z6kernelI23warp_striped_to_blockedaLj256ELj3ELj100EEvPKT0_PKjPS1_
	.globl	_Z6kernelI23warp_striped_to_blockedaLj256ELj3ELj100EEvPKT0_PKjPS1_
	.p2align	8
	.type	_Z6kernelI23warp_striped_to_blockedaLj256ELj3ELj100EEvPKT0_PKjPS1_,@function
_Z6kernelI23warp_striped_to_blockedaLj256ELj3ELj100EEvPKT0_PKjPS1_: ; @_Z6kernelI23warp_striped_to_blockedaLj256ELj3ELj100EEvPKT0_PKjPS1_
; %bb.0:
	s_load_b64 s[4:5], s[0:1], 0x0
	v_and_b32_e32 v1, 0xe0, v0
	v_mbcnt_lo_u32_b32 v3, -1, 0
	s_mul_i32 s2, s15, 0x300
	s_delay_alu instid0(VALU_DEP_2) | instskip(SKIP_4) | instid1(VALU_DEP_1)
	v_mul_u32_u24_e32 v1, 3, v1
	s_waitcnt lgkmcnt(0)
	s_add_u32 s3, s4, s2
	s_addc_u32 s4, s5, 0
	v_add_co_u32 v2, s3, s3, v3
	v_add_co_ci_u32_e64 v4, null, s4, 0, s3
	s_movk_i32 s3, 0x64
	s_delay_alu instid0(VALU_DEP_2) | instskip(NEXT) | instid1(VALU_DEP_2)
	v_add_co_u32 v1, vcc_lo, v2, v1
	v_add_co_ci_u32_e32 v2, vcc_lo, 0, v4, vcc_lo
	s_clause 0x2
	global_load_u8 v4, v[1:2], off offset:32
	global_load_u8 v5, v[1:2], off
	global_load_u8 v2, v[1:2], off offset:64
	s_waitcnt vmcnt(2)
	v_lshlrev_b16 v1, 8, v4
	v_lshrrev_b32_e32 v4, 5, v0
	s_waitcnt vmcnt(1)
	s_delay_alu instid0(VALU_DEP_2) | instskip(NEXT) | instid1(VALU_DEP_2)
	v_or_b32_e32 v1, v5, v1
	v_mul_u32_u24_e32 v4, 0x60, v4
	s_delay_alu instid0(VALU_DEP_2) | instskip(NEXT) | instid1(VALU_DEP_2)
	v_and_b32_e32 v5, 0xffff, v1
	v_mad_u32_u24 v1, v3, 3, v4
	s_waitcnt vmcnt(0)
	s_delay_alu instid0(VALU_DEP_2)
	v_lshl_or_b32 v5, v2, 16, v5
	v_add_nc_u32_e32 v2, v3, v4
	.p2align	6
.LBB98_1:                               ; =>This Inner Loop Header: Depth=1
	s_delay_alu instid0(VALU_DEP_1)
	v_lshrrev_b32_e32 v3, 8, v5
	s_add_i32 s3, s3, -1
	ds_store_b8 v2, v5
	ds_store_b8 v2, v3 offset:32
	ds_store_b8_d16_hi v2, v5 offset:64
	; wave barrier
	ds_load_u8 v4, v1 offset:1
	ds_load_u8 v5, v1
	ds_load_u8 v3, v1 offset:2
	s_cmp_lg_u32 s3, 0
	s_waitcnt lgkmcnt(0)
	s_barrier
	buffer_gl0_inv
	v_lshlrev_b16 v4, 8, v4
	s_delay_alu instid0(VALU_DEP_1) | instskip(SKIP_1) | instid1(VALU_DEP_2)
	v_or_b32_e32 v4, v5, v4
	v_lshlrev_b32_e32 v5, 16, v3
	v_and_b32_e32 v6, 0xffff, v4
	s_delay_alu instid0(VALU_DEP_1)
	v_or_b32_e32 v5, v6, v5
	s_cbranch_scc1 .LBB98_1
; %bb.2:
	s_load_b64 s[0:1], s[0:1], 0x10
	v_mul_u32_u24_e32 v0, 3, v0
	s_waitcnt lgkmcnt(0)
	s_add_u32 s0, s0, s2
	s_addc_u32 s1, s1, 0
	s_clause 0x1
	global_store_b8 v0, v3, s[0:1] offset:2
	global_store_b16 v0, v4, s[0:1]
	s_nop 0
	s_sendmsg sendmsg(MSG_DEALLOC_VGPRS)
	s_endpgm
	.section	.rodata,"a",@progbits
	.p2align	6, 0x0
	.amdhsa_kernel _Z6kernelI23warp_striped_to_blockedaLj256ELj3ELj100EEvPKT0_PKjPS1_
		.amdhsa_group_segment_fixed_size 768
		.amdhsa_private_segment_fixed_size 0
		.amdhsa_kernarg_size 24
		.amdhsa_user_sgpr_count 15
		.amdhsa_user_sgpr_dispatch_ptr 0
		.amdhsa_user_sgpr_queue_ptr 0
		.amdhsa_user_sgpr_kernarg_segment_ptr 1
		.amdhsa_user_sgpr_dispatch_id 0
		.amdhsa_user_sgpr_private_segment_size 0
		.amdhsa_wavefront_size32 1
		.amdhsa_uses_dynamic_stack 0
		.amdhsa_enable_private_segment 0
		.amdhsa_system_sgpr_workgroup_id_x 1
		.amdhsa_system_sgpr_workgroup_id_y 0
		.amdhsa_system_sgpr_workgroup_id_z 0
		.amdhsa_system_sgpr_workgroup_info 0
		.amdhsa_system_vgpr_workitem_id 0
		.amdhsa_next_free_vgpr 7
		.amdhsa_next_free_sgpr 16
		.amdhsa_reserve_vcc 1
		.amdhsa_float_round_mode_32 0
		.amdhsa_float_round_mode_16_64 0
		.amdhsa_float_denorm_mode_32 3
		.amdhsa_float_denorm_mode_16_64 3
		.amdhsa_dx10_clamp 1
		.amdhsa_ieee_mode 1
		.amdhsa_fp16_overflow 0
		.amdhsa_workgroup_processor_mode 1
		.amdhsa_memory_ordered 1
		.amdhsa_forward_progress 0
		.amdhsa_shared_vgpr_count 0
		.amdhsa_exception_fp_ieee_invalid_op 0
		.amdhsa_exception_fp_denorm_src 0
		.amdhsa_exception_fp_ieee_div_zero 0
		.amdhsa_exception_fp_ieee_overflow 0
		.amdhsa_exception_fp_ieee_underflow 0
		.amdhsa_exception_fp_ieee_inexact 0
		.amdhsa_exception_int_div_zero 0
	.end_amdhsa_kernel
	.section	.text._Z6kernelI23warp_striped_to_blockedaLj256ELj3ELj100EEvPKT0_PKjPS1_,"axG",@progbits,_Z6kernelI23warp_striped_to_blockedaLj256ELj3ELj100EEvPKT0_PKjPS1_,comdat
.Lfunc_end98:
	.size	_Z6kernelI23warp_striped_to_blockedaLj256ELj3ELj100EEvPKT0_PKjPS1_, .Lfunc_end98-_Z6kernelI23warp_striped_to_blockedaLj256ELj3ELj100EEvPKT0_PKjPS1_
                                        ; -- End function
	.section	.AMDGPU.csdata,"",@progbits
; Kernel info:
; codeLenInByte = 368
; NumSgprs: 18
; NumVgprs: 7
; ScratchSize: 0
; MemoryBound: 0
; FloatMode: 240
; IeeeMode: 1
; LDSByteSize: 768 bytes/workgroup (compile time only)
; SGPRBlocks: 2
; VGPRBlocks: 0
; NumSGPRsForWavesPerEU: 18
; NumVGPRsForWavesPerEU: 7
; Occupancy: 16
; WaveLimiterHint : 0
; COMPUTE_PGM_RSRC2:SCRATCH_EN: 0
; COMPUTE_PGM_RSRC2:USER_SGPR: 15
; COMPUTE_PGM_RSRC2:TRAP_HANDLER: 0
; COMPUTE_PGM_RSRC2:TGID_X_EN: 1
; COMPUTE_PGM_RSRC2:TGID_Y_EN: 0
; COMPUTE_PGM_RSRC2:TGID_Z_EN: 0
; COMPUTE_PGM_RSRC2:TIDIG_COMP_CNT: 0
	.section	.text._Z6kernelI23warp_striped_to_blockedaLj256ELj4ELj100EEvPKT0_PKjPS1_,"axG",@progbits,_Z6kernelI23warp_striped_to_blockedaLj256ELj4ELj100EEvPKT0_PKjPS1_,comdat
	.protected	_Z6kernelI23warp_striped_to_blockedaLj256ELj4ELj100EEvPKT0_PKjPS1_ ; -- Begin function _Z6kernelI23warp_striped_to_blockedaLj256ELj4ELj100EEvPKT0_PKjPS1_
	.globl	_Z6kernelI23warp_striped_to_blockedaLj256ELj4ELj100EEvPKT0_PKjPS1_
	.p2align	8
	.type	_Z6kernelI23warp_striped_to_blockedaLj256ELj4ELj100EEvPKT0_PKjPS1_,@function
_Z6kernelI23warp_striped_to_blockedaLj256ELj4ELj100EEvPKT0_PKjPS1_: ; @_Z6kernelI23warp_striped_to_blockedaLj256ELj4ELj100EEvPKT0_PKjPS1_
; %bb.0:
	s_load_b64 s[4:5], s[0:1], 0x0
	v_lshlrev_b32_e32 v1, 2, v0
	v_mbcnt_lo_u32_b32 v4, -1, 0
	s_lshl_b32 s2, s15, 10
	v_and_b32_e32 v0, 0xe0, v0
	s_delay_alu instid0(VALU_DEP_3) | instskip(SKIP_4) | instid1(VALU_DEP_1)
	v_and_b32_e32 v5, 0x380, v1
	s_waitcnt lgkmcnt(0)
	s_add_u32 s3, s4, s2
	s_addc_u32 s4, s5, 0
	v_add_co_u32 v2, s3, s3, v4
	v_add_co_ci_u32_e64 v3, null, s4, 0, s3
	s_movk_i32 s3, 0x64
	s_delay_alu instid0(VALU_DEP_2) | instskip(NEXT) | instid1(VALU_DEP_2)
	v_add_co_u32 v2, vcc_lo, v2, v5
	v_add_co_ci_u32_e32 v3, vcc_lo, 0, v3, vcc_lo
	s_clause 0x3
	global_load_u8 v6, v[2:3], off offset:32
	global_load_u8 v7, v[2:3], off offset:96
	global_load_u8 v8, v[2:3], off
	global_load_u8 v2, v[2:3], off offset:64
	s_waitcnt vmcnt(3)
	v_lshlrev_b16 v3, 8, v6
	s_waitcnt vmcnt(2)
	v_lshlrev_b16 v6, 8, v7
	s_waitcnt vmcnt(1)
	s_delay_alu instid0(VALU_DEP_2) | instskip(SKIP_1) | instid1(VALU_DEP_2)
	v_or_b32_e32 v3, v8, v3
	s_waitcnt vmcnt(0)
	v_or_b32_e32 v2, v2, v6
	v_or_b32_e32 v6, v4, v0
	v_lshrrev_b32_e32 v0, 3, v0
	v_or_b32_e32 v4, v4, v5
	v_and_b32_e32 v3, 0xffff, v3
	v_lshlrev_b32_e32 v7, 16, v2
	v_lshrrev_b32_e32 v5, 5, v5
	v_lshl_add_u32 v2, v6, 2, v0
	s_delay_alu instid0(VALU_DEP_3) | instskip(NEXT) | instid1(VALU_DEP_3)
	v_or_b32_e32 v0, v3, v7
	v_add_nc_u32_e32 v3, v5, v4
.LBB99_1:                               ; =>This Inner Loop Header: Depth=1
	s_delay_alu instid0(VALU_DEP_2)
	v_lshrrev_b32_e32 v4, 8, v0
	v_lshrrev_b32_e32 v5, 24, v0
	s_add_i32 s3, s3, -1
	ds_store_b8 v3, v0
	ds_store_b8 v3, v4 offset:32
	ds_store_b8_d16_hi v3, v0 offset:64
	ds_store_b8 v3, v5 offset:96
	; wave barrier
	ds_load_b32 v0, v2
	s_cmp_lg_u32 s3, 0
	s_waitcnt lgkmcnt(0)
	s_barrier
	buffer_gl0_inv
	s_cbranch_scc1 .LBB99_1
; %bb.2:
	s_load_b64 s[0:1], s[0:1], 0x10
	s_waitcnt lgkmcnt(0)
	s_add_u32 s0, s0, s2
	s_addc_u32 s1, s1, 0
	global_store_b32 v1, v0, s[0:1]
	s_nop 0
	s_sendmsg sendmsg(MSG_DEALLOC_VGPRS)
	s_endpgm
	.section	.rodata,"a",@progbits
	.p2align	6, 0x0
	.amdhsa_kernel _Z6kernelI23warp_striped_to_blockedaLj256ELj4ELj100EEvPKT0_PKjPS1_
		.amdhsa_group_segment_fixed_size 1056
		.amdhsa_private_segment_fixed_size 0
		.amdhsa_kernarg_size 24
		.amdhsa_user_sgpr_count 15
		.amdhsa_user_sgpr_dispatch_ptr 0
		.amdhsa_user_sgpr_queue_ptr 0
		.amdhsa_user_sgpr_kernarg_segment_ptr 1
		.amdhsa_user_sgpr_dispatch_id 0
		.amdhsa_user_sgpr_private_segment_size 0
		.amdhsa_wavefront_size32 1
		.amdhsa_uses_dynamic_stack 0
		.amdhsa_enable_private_segment 0
		.amdhsa_system_sgpr_workgroup_id_x 1
		.amdhsa_system_sgpr_workgroup_id_y 0
		.amdhsa_system_sgpr_workgroup_id_z 0
		.amdhsa_system_sgpr_workgroup_info 0
		.amdhsa_system_vgpr_workitem_id 0
		.amdhsa_next_free_vgpr 9
		.amdhsa_next_free_sgpr 16
		.amdhsa_reserve_vcc 1
		.amdhsa_float_round_mode_32 0
		.amdhsa_float_round_mode_16_64 0
		.amdhsa_float_denorm_mode_32 3
		.amdhsa_float_denorm_mode_16_64 3
		.amdhsa_dx10_clamp 1
		.amdhsa_ieee_mode 1
		.amdhsa_fp16_overflow 0
		.amdhsa_workgroup_processor_mode 1
		.amdhsa_memory_ordered 1
		.amdhsa_forward_progress 0
		.amdhsa_shared_vgpr_count 0
		.amdhsa_exception_fp_ieee_invalid_op 0
		.amdhsa_exception_fp_denorm_src 0
		.amdhsa_exception_fp_ieee_div_zero 0
		.amdhsa_exception_fp_ieee_overflow 0
		.amdhsa_exception_fp_ieee_underflow 0
		.amdhsa_exception_fp_ieee_inexact 0
		.amdhsa_exception_int_div_zero 0
	.end_amdhsa_kernel
	.section	.text._Z6kernelI23warp_striped_to_blockedaLj256ELj4ELj100EEvPKT0_PKjPS1_,"axG",@progbits,_Z6kernelI23warp_striped_to_blockedaLj256ELj4ELj100EEvPKT0_PKjPS1_,comdat
.Lfunc_end99:
	.size	_Z6kernelI23warp_striped_to_blockedaLj256ELj4ELj100EEvPKT0_PKjPS1_, .Lfunc_end99-_Z6kernelI23warp_striped_to_blockedaLj256ELj4ELj100EEvPKT0_PKjPS1_
                                        ; -- End function
	.section	.AMDGPU.csdata,"",@progbits
; Kernel info:
; codeLenInByte = 340
; NumSgprs: 18
; NumVgprs: 9
; ScratchSize: 0
; MemoryBound: 0
; FloatMode: 240
; IeeeMode: 1
; LDSByteSize: 1056 bytes/workgroup (compile time only)
; SGPRBlocks: 2
; VGPRBlocks: 1
; NumSGPRsForWavesPerEU: 18
; NumVGPRsForWavesPerEU: 9
; Occupancy: 16
; WaveLimiterHint : 0
; COMPUTE_PGM_RSRC2:SCRATCH_EN: 0
; COMPUTE_PGM_RSRC2:USER_SGPR: 15
; COMPUTE_PGM_RSRC2:TRAP_HANDLER: 0
; COMPUTE_PGM_RSRC2:TGID_X_EN: 1
; COMPUTE_PGM_RSRC2:TGID_Y_EN: 0
; COMPUTE_PGM_RSRC2:TGID_Z_EN: 0
; COMPUTE_PGM_RSRC2:TIDIG_COMP_CNT: 0
	.section	.text._Z6kernelI23warp_striped_to_blockedaLj256ELj7ELj100EEvPKT0_PKjPS1_,"axG",@progbits,_Z6kernelI23warp_striped_to_blockedaLj256ELj7ELj100EEvPKT0_PKjPS1_,comdat
	.protected	_Z6kernelI23warp_striped_to_blockedaLj256ELj7ELj100EEvPKT0_PKjPS1_ ; -- Begin function _Z6kernelI23warp_striped_to_blockedaLj256ELj7ELj100EEvPKT0_PKjPS1_
	.globl	_Z6kernelI23warp_striped_to_blockedaLj256ELj7ELj100EEvPKT0_PKjPS1_
	.p2align	8
	.type	_Z6kernelI23warp_striped_to_blockedaLj256ELj7ELj100EEvPKT0_PKjPS1_,@function
_Z6kernelI23warp_striped_to_blockedaLj256ELj7ELj100EEvPKT0_PKjPS1_: ; @_Z6kernelI23warp_striped_to_blockedaLj256ELj7ELj100EEvPKT0_PKjPS1_
; %bb.0:
	s_load_b64 s[4:5], s[0:1], 0x0
	v_and_b32_e32 v1, 0xe0, v0
	v_mbcnt_lo_u32_b32 v6, -1, 0
	s_mul_i32 s2, s15, 0x700
	s_delay_alu instid0(VALU_DEP_2) | instskip(SKIP_4) | instid1(VALU_DEP_1)
	v_mul_u32_u24_e32 v1, 7, v1
	s_waitcnt lgkmcnt(0)
	s_add_u32 s3, s4, s2
	s_addc_u32 s4, s5, 0
	v_add_co_u32 v2, s3, s3, v6
	v_add_co_ci_u32_e64 v3, null, s4, 0, s3
	s_movk_i32 s3, 0x64
	s_delay_alu instid0(VALU_DEP_2) | instskip(NEXT) | instid1(VALU_DEP_2)
	v_add_co_u32 v4, vcc_lo, v2, v1
	v_add_co_ci_u32_e32 v5, vcc_lo, 0, v3, vcc_lo
	s_clause 0x6
	global_load_u8 v7, v[4:5], off offset:32
	global_load_u8 v8, v[4:5], off offset:96
	global_load_u8 v9, v[4:5], off
	global_load_u8 v10, v[4:5], off offset:64
	global_load_u8 v2, v[4:5], off offset:128
	;; [unrolled: 1-line block ×4, first 2 shown]
	s_waitcnt vmcnt(6)
	v_lshlrev_b16 v4, 8, v7
	s_waitcnt vmcnt(5)
	v_lshlrev_b16 v5, 8, v8
	v_lshrrev_b32_e32 v7, 5, v0
	s_waitcnt vmcnt(4)
	v_or_b32_e32 v4, v9, v4
	s_waitcnt vmcnt(3)
	v_or_b32_e32 v5, v10, v5
	v_mul_u32_u24_e32 v7, 0xe0, v7
	s_delay_alu instid0(VALU_DEP_3) | instskip(NEXT) | instid1(VALU_DEP_3)
	v_and_b32_e32 v4, 0xffff, v4
	v_lshlrev_b32_e32 v8, 16, v5
	s_delay_alu instid0(VALU_DEP_3) | instskip(SKIP_1) | instid1(VALU_DEP_3)
	v_mad_u32_u24 v5, v6, 7, v7
	v_add_nc_u32_e32 v6, v6, v7
	v_or_b32_e32 v4, v4, v8
	.p2align	6
.LBB100_1:                              ; =>This Inner Loop Header: Depth=1
	s_delay_alu instid0(VALU_DEP_1)
	v_lshrrev_b32_e32 v7, 8, v4
	v_lshrrev_b32_e32 v8, 24, v4
	s_add_i32 s3, s3, -1
	ds_store_b8 v6, v4
	ds_store_b8 v6, v7 offset:32
	ds_store_b8_d16_hi v6, v4 offset:64
	ds_store_b8 v6, v8 offset:96
	s_waitcnt vmcnt(2)
	ds_store_b8 v6, v2 offset:128
	s_waitcnt vmcnt(1)
	;; [unrolled: 2-line block ×3, first 2 shown]
	ds_store_b8 v6, v1 offset:192
	; wave barrier
	ds_load_b32 v4, v5
	ds_load_u8 v2, v5 offset:4
	ds_load_u8 v3, v5 offset:5
	;; [unrolled: 1-line block ×3, first 2 shown]
	s_cmp_lg_u32 s3, 0
	s_waitcnt lgkmcnt(0)
	s_barrier
	buffer_gl0_inv
	s_cbranch_scc1 .LBB100_1
; %bb.2:
	s_load_b64 s[0:1], s[0:1], 0x10
	v_lshlrev_b16 v3, 8, v3
	v_and_b32_e32 v2, 0xff, v2
	v_mul_u32_u24_e32 v0, 7, v0
	s_delay_alu instid0(VALU_DEP_2)
	v_or_b32_e32 v2, v2, v3
	s_waitcnt lgkmcnt(0)
	s_add_u32 s0, s0, s2
	s_addc_u32 s1, s1, 0
	s_clause 0x2
	global_store_b8 v0, v1, s[0:1] offset:6
	global_store_b16 v0, v2, s[0:1] offset:4
	global_store_b32 v0, v4, s[0:1]
	s_nop 0
	s_sendmsg sendmsg(MSG_DEALLOC_VGPRS)
	s_endpgm
	.section	.rodata,"a",@progbits
	.p2align	6, 0x0
	.amdhsa_kernel _Z6kernelI23warp_striped_to_blockedaLj256ELj7ELj100EEvPKT0_PKjPS1_
		.amdhsa_group_segment_fixed_size 1792
		.amdhsa_private_segment_fixed_size 0
		.amdhsa_kernarg_size 24
		.amdhsa_user_sgpr_count 15
		.amdhsa_user_sgpr_dispatch_ptr 0
		.amdhsa_user_sgpr_queue_ptr 0
		.amdhsa_user_sgpr_kernarg_segment_ptr 1
		.amdhsa_user_sgpr_dispatch_id 0
		.amdhsa_user_sgpr_private_segment_size 0
		.amdhsa_wavefront_size32 1
		.amdhsa_uses_dynamic_stack 0
		.amdhsa_enable_private_segment 0
		.amdhsa_system_sgpr_workgroup_id_x 1
		.amdhsa_system_sgpr_workgroup_id_y 0
		.amdhsa_system_sgpr_workgroup_id_z 0
		.amdhsa_system_sgpr_workgroup_info 0
		.amdhsa_system_vgpr_workitem_id 0
		.amdhsa_next_free_vgpr 11
		.amdhsa_next_free_sgpr 16
		.amdhsa_reserve_vcc 1
		.amdhsa_float_round_mode_32 0
		.amdhsa_float_round_mode_16_64 0
		.amdhsa_float_denorm_mode_32 3
		.amdhsa_float_denorm_mode_16_64 3
		.amdhsa_dx10_clamp 1
		.amdhsa_ieee_mode 1
		.amdhsa_fp16_overflow 0
		.amdhsa_workgroup_processor_mode 1
		.amdhsa_memory_ordered 1
		.amdhsa_forward_progress 0
		.amdhsa_shared_vgpr_count 0
		.amdhsa_exception_fp_ieee_invalid_op 0
		.amdhsa_exception_fp_denorm_src 0
		.amdhsa_exception_fp_ieee_div_zero 0
		.amdhsa_exception_fp_ieee_overflow 0
		.amdhsa_exception_fp_ieee_underflow 0
		.amdhsa_exception_fp_ieee_inexact 0
		.amdhsa_exception_int_div_zero 0
	.end_amdhsa_kernel
	.section	.text._Z6kernelI23warp_striped_to_blockedaLj256ELj7ELj100EEvPKT0_PKjPS1_,"axG",@progbits,_Z6kernelI23warp_striped_to_blockedaLj256ELj7ELj100EEvPKT0_PKjPS1_,comdat
.Lfunc_end100:
	.size	_Z6kernelI23warp_striped_to_blockedaLj256ELj7ELj100EEvPKT0_PKjPS1_, .Lfunc_end100-_Z6kernelI23warp_striped_to_blockedaLj256ELj7ELj100EEvPKT0_PKjPS1_
                                        ; -- End function
	.section	.AMDGPU.csdata,"",@progbits
; Kernel info:
; codeLenInByte = 464
; NumSgprs: 18
; NumVgprs: 11
; ScratchSize: 0
; MemoryBound: 0
; FloatMode: 240
; IeeeMode: 1
; LDSByteSize: 1792 bytes/workgroup (compile time only)
; SGPRBlocks: 2
; VGPRBlocks: 1
; NumSGPRsForWavesPerEU: 18
; NumVGPRsForWavesPerEU: 11
; Occupancy: 16
; WaveLimiterHint : 0
; COMPUTE_PGM_RSRC2:SCRATCH_EN: 0
; COMPUTE_PGM_RSRC2:USER_SGPR: 15
; COMPUTE_PGM_RSRC2:TRAP_HANDLER: 0
; COMPUTE_PGM_RSRC2:TGID_X_EN: 1
; COMPUTE_PGM_RSRC2:TGID_Y_EN: 0
; COMPUTE_PGM_RSRC2:TGID_Z_EN: 0
; COMPUTE_PGM_RSRC2:TIDIG_COMP_CNT: 0
	.section	.text._Z6kernelI23warp_striped_to_blockedaLj256ELj8ELj100EEvPKT0_PKjPS1_,"axG",@progbits,_Z6kernelI23warp_striped_to_blockedaLj256ELj8ELj100EEvPKT0_PKjPS1_,comdat
	.protected	_Z6kernelI23warp_striped_to_blockedaLj256ELj8ELj100EEvPKT0_PKjPS1_ ; -- Begin function _Z6kernelI23warp_striped_to_blockedaLj256ELj8ELj100EEvPKT0_PKjPS1_
	.globl	_Z6kernelI23warp_striped_to_blockedaLj256ELj8ELj100EEvPKT0_PKjPS1_
	.p2align	8
	.type	_Z6kernelI23warp_striped_to_blockedaLj256ELj8ELj100EEvPKT0_PKjPS1_,@function
_Z6kernelI23warp_striped_to_blockedaLj256ELj8ELj100EEvPKT0_PKjPS1_: ; @_Z6kernelI23warp_striped_to_blockedaLj256ELj8ELj100EEvPKT0_PKjPS1_
; %bb.0:
	s_load_b64 s[4:5], s[0:1], 0x0
	v_lshlrev_b32_e32 v2, 3, v0
	v_mbcnt_lo_u32_b32 v1, -1, 0
	s_lshl_b32 s2, s15, 11
	s_delay_alu instid0(VALU_DEP_2) | instskip(NEXT) | instid1(VALU_DEP_2)
	v_and_b32_e32 v5, 0x700, v2
	v_and_or_b32 v0, 0xe0, v0, v1
	s_delay_alu instid0(VALU_DEP_2) | instskip(SKIP_4) | instid1(VALU_DEP_1)
	v_or_b32_e32 v13, v1, v5
	s_waitcnt lgkmcnt(0)
	s_add_u32 s3, s4, s2
	s_addc_u32 s4, s5, 0
	v_add_co_u32 v3, s3, s3, v1
	v_add_co_ci_u32_e64 v4, null, s4, 0, s3
	v_lshrrev_b32_e32 v1, 5, v5
	s_delay_alu instid0(VALU_DEP_3) | instskip(NEXT) | instid1(VALU_DEP_3)
	v_add_co_u32 v3, vcc_lo, v3, v5
	v_add_co_ci_u32_e32 v4, vcc_lo, 0, v4, vcc_lo
	v_or_b32_e32 v5, 0x80, v5
	s_movk_i32 s3, 0x64
	s_clause 0x7
	global_load_u8 v6, v[3:4], off offset:32
	global_load_u8 v7, v[3:4], off offset:96
	;; [unrolled: 1-line block ×4, first 2 shown]
	global_load_u8 v10, v[3:4], off
	global_load_u8 v11, v[3:4], off offset:64
	global_load_u8 v12, v[3:4], off offset:128
	global_load_u8 v3, v[3:4], off offset:192
	v_lshrrev_b32_e32 v4, 2, v0
	v_lshrrev_b32_e32 v5, 5, v5
	s_delay_alu instid0(VALU_DEP_2) | instskip(NEXT) | instid1(VALU_DEP_2)
	v_and_b32_e32 v4, 60, v4
	v_add_nc_u32_e32 v5, v5, v13
	s_waitcnt vmcnt(7)
	v_lshlrev_b16 v6, 8, v6
	s_waitcnt vmcnt(6)
	v_lshlrev_b16 v7, 8, v7
	;; [unrolled: 2-line block ×4, first 2 shown]
	s_waitcnt vmcnt(3)
	v_or_b32_e32 v6, v10, v6
	s_waitcnt vmcnt(2)
	v_or_b32_e32 v7, v11, v7
	;; [unrolled: 2-line block ×4, first 2 shown]
	v_and_b32_e32 v6, 0xffff, v6
	v_lshlrev_b32_e32 v7, 16, v7
	v_and_b32_e32 v8, 0xffff, v8
	s_delay_alu instid0(VALU_DEP_4) | instskip(SKIP_3) | instid1(VALU_DEP_4)
	v_lshlrev_b32_e32 v9, 16, v3
	v_lshl_add_u32 v3, v0, 3, v4
	v_add_nc_u32_e32 v4, v1, v13
	v_or_b32_e32 v0, v6, v7
	v_or_b32_e32 v1, v8, v9
	.p2align	6
.LBB101_1:                              ; =>This Inner Loop Header: Depth=1
	s_delay_alu instid0(VALU_DEP_2) | instskip(SKIP_1) | instid1(VALU_DEP_3)
	v_lshrrev_b32_e32 v6, 8, v0
	v_lshrrev_b32_e32 v7, 24, v0
	;; [unrolled: 1-line block ×4, first 2 shown]
	ds_store_b8 v4, v0
	ds_store_b8 v4, v6 offset:32
	ds_store_b8_d16_hi v4, v0 offset:64
	ds_store_b8 v4, v7 offset:96
	ds_store_b8 v5, v1 offset:128
	;; [unrolled: 1-line block ×3, first 2 shown]
	ds_store_b8_d16_hi v5, v1 offset:192
	ds_store_b8 v5, v9 offset:224
	; wave barrier
	ds_load_2addr_b32 v[0:1], v3 offset1:1
	s_add_i32 s3, s3, -1
	s_waitcnt lgkmcnt(0)
	s_cmp_lg_u32 s3, 0
	s_barrier
	buffer_gl0_inv
	s_cbranch_scc1 .LBB101_1
; %bb.2:
	v_lshrrev_b32_e32 v3, 8, v1
	v_lshrrev_b32_e32 v4, 24, v1
	;; [unrolled: 1-line block ×3, first 2 shown]
	s_load_b64 s[0:1], s[0:1], 0x10
	v_and_b32_e32 v1, 0xff, v1
	v_lshlrev_b16 v3, 8, v3
	v_lshlrev_b16 v4, 8, v4
	v_and_b32_e32 v5, 0xff, v5
	s_delay_alu instid0(VALU_DEP_3) | instskip(NEXT) | instid1(VALU_DEP_2)
	v_or_b32_e32 v1, v1, v3
	v_or_b32_e32 v3, v5, v4
	s_delay_alu instid0(VALU_DEP_2) | instskip(NEXT) | instid1(VALU_DEP_2)
	v_and_b32_e32 v1, 0xffff, v1
	v_lshlrev_b32_e32 v3, 16, v3
	s_delay_alu instid0(VALU_DEP_1)
	v_or_b32_e32 v1, v1, v3
	s_waitcnt lgkmcnt(0)
	s_add_u32 s0, s0, s2
	s_addc_u32 s1, s1, 0
	global_store_b64 v2, v[0:1], s[0:1]
	s_nop 0
	s_sendmsg sendmsg(MSG_DEALLOC_VGPRS)
	s_endpgm
	.section	.rodata,"a",@progbits
	.p2align	6, 0x0
	.amdhsa_kernel _Z6kernelI23warp_striped_to_blockedaLj256ELj8ELj100EEvPKT0_PKjPS1_
		.amdhsa_group_segment_fixed_size 2112
		.amdhsa_private_segment_fixed_size 0
		.amdhsa_kernarg_size 24
		.amdhsa_user_sgpr_count 15
		.amdhsa_user_sgpr_dispatch_ptr 0
		.amdhsa_user_sgpr_queue_ptr 0
		.amdhsa_user_sgpr_kernarg_segment_ptr 1
		.amdhsa_user_sgpr_dispatch_id 0
		.amdhsa_user_sgpr_private_segment_size 0
		.amdhsa_wavefront_size32 1
		.amdhsa_uses_dynamic_stack 0
		.amdhsa_enable_private_segment 0
		.amdhsa_system_sgpr_workgroup_id_x 1
		.amdhsa_system_sgpr_workgroup_id_y 0
		.amdhsa_system_sgpr_workgroup_id_z 0
		.amdhsa_system_sgpr_workgroup_info 0
		.amdhsa_system_vgpr_workitem_id 0
		.amdhsa_next_free_vgpr 14
		.amdhsa_next_free_sgpr 16
		.amdhsa_reserve_vcc 1
		.amdhsa_float_round_mode_32 0
		.amdhsa_float_round_mode_16_64 0
		.amdhsa_float_denorm_mode_32 3
		.amdhsa_float_denorm_mode_16_64 3
		.amdhsa_dx10_clamp 1
		.amdhsa_ieee_mode 1
		.amdhsa_fp16_overflow 0
		.amdhsa_workgroup_processor_mode 1
		.amdhsa_memory_ordered 1
		.amdhsa_forward_progress 0
		.amdhsa_shared_vgpr_count 0
		.amdhsa_exception_fp_ieee_invalid_op 0
		.amdhsa_exception_fp_denorm_src 0
		.amdhsa_exception_fp_ieee_div_zero 0
		.amdhsa_exception_fp_ieee_overflow 0
		.amdhsa_exception_fp_ieee_underflow 0
		.amdhsa_exception_fp_ieee_inexact 0
		.amdhsa_exception_int_div_zero 0
	.end_amdhsa_kernel
	.section	.text._Z6kernelI23warp_striped_to_blockedaLj256ELj8ELj100EEvPKT0_PKjPS1_,"axG",@progbits,_Z6kernelI23warp_striped_to_blockedaLj256ELj8ELj100EEvPKT0_PKjPS1_,comdat
.Lfunc_end101:
	.size	_Z6kernelI23warp_striped_to_blockedaLj256ELj8ELj100EEvPKT0_PKjPS1_, .Lfunc_end101-_Z6kernelI23warp_striped_to_blockedaLj256ELj8ELj100EEvPKT0_PKjPS1_
                                        ; -- End function
	.section	.AMDGPU.csdata,"",@progbits
; Kernel info:
; codeLenInByte = 572
; NumSgprs: 18
; NumVgprs: 14
; ScratchSize: 0
; MemoryBound: 0
; FloatMode: 240
; IeeeMode: 1
; LDSByteSize: 2112 bytes/workgroup (compile time only)
; SGPRBlocks: 2
; VGPRBlocks: 1
; NumSGPRsForWavesPerEU: 18
; NumVGPRsForWavesPerEU: 14
; Occupancy: 16
; WaveLimiterHint : 0
; COMPUTE_PGM_RSRC2:SCRATCH_EN: 0
; COMPUTE_PGM_RSRC2:USER_SGPR: 15
; COMPUTE_PGM_RSRC2:TRAP_HANDLER: 0
; COMPUTE_PGM_RSRC2:TGID_X_EN: 1
; COMPUTE_PGM_RSRC2:TGID_Y_EN: 0
; COMPUTE_PGM_RSRC2:TGID_Z_EN: 0
; COMPUTE_PGM_RSRC2:TIDIG_COMP_CNT: 0
	.section	.text._Z6kernelI23warp_striped_to_blockedxLj256ELj1ELj100EEvPKT0_PKjPS1_,"axG",@progbits,_Z6kernelI23warp_striped_to_blockedxLj256ELj1ELj100EEvPKT0_PKjPS1_,comdat
	.protected	_Z6kernelI23warp_striped_to_blockedxLj256ELj1ELj100EEvPKT0_PKjPS1_ ; -- Begin function _Z6kernelI23warp_striped_to_blockedxLj256ELj1ELj100EEvPKT0_PKjPS1_
	.globl	_Z6kernelI23warp_striped_to_blockedxLj256ELj1ELj100EEvPKT0_PKjPS1_
	.p2align	8
	.type	_Z6kernelI23warp_striped_to_blockedxLj256ELj1ELj100EEvPKT0_PKjPS1_,@function
_Z6kernelI23warp_striped_to_blockedxLj256ELj1ELj100EEvPKT0_PKjPS1_: ; @_Z6kernelI23warp_striped_to_blockedxLj256ELj1ELj100EEvPKT0_PKjPS1_
; %bb.0:
	s_load_b64 s[4:5], s[0:1], 0x0
	v_mbcnt_lo_u32_b32 v1, -1, 0
	s_mov_b32 s3, 0
	s_lshl_b32 s2, s15, 8
	v_and_b32_e32 v2, 0xe0, v0
	s_lshl_b64 s[2:3], s[2:3], 3
	v_lshlrev_b32_e32 v3, 3, v1
	s_delay_alu instid0(VALU_DEP_2) | instskip(SKIP_4) | instid1(VALU_DEP_1)
	v_lshlrev_b32_e32 v4, 3, v2
	s_waitcnt lgkmcnt(0)
	s_add_u32 s4, s4, s2
	s_addc_u32 s5, s5, s3
	v_add_co_u32 v1, s4, s4, v3
	v_add_co_ci_u32_e64 v2, null, s5, 0, s4
	v_or_b32_e32 v3, v3, v4
	s_delay_alu instid0(VALU_DEP_3) | instskip(NEXT) | instid1(VALU_DEP_3)
	v_add_co_u32 v1, vcc_lo, v1, v4
	v_add_co_ci_u32_e32 v2, vcc_lo, 0, v2, vcc_lo
	s_movk_i32 s4, 0x64
	global_load_b64 v[1:2], v[1:2], off
.LBB102_1:                              ; =>This Inner Loop Header: Depth=1
	s_waitcnt vmcnt(0)
	ds_store_b64 v3, v[1:2]
	; wave barrier
	ds_load_b64 v[1:2], v3
	s_add_i32 s4, s4, -1
	s_waitcnt lgkmcnt(0)
	s_cmp_lg_u32 s4, 0
	s_barrier
	buffer_gl0_inv
	s_cbranch_scc1 .LBB102_1
; %bb.2:
	s_load_b64 s[0:1], s[0:1], 0x10
	v_lshlrev_b32_e32 v0, 3, v0
	s_waitcnt lgkmcnt(0)
	s_add_u32 s0, s0, s2
	s_addc_u32 s1, s1, s3
	global_store_b64 v0, v[1:2], s[0:1]
	s_nop 0
	s_sendmsg sendmsg(MSG_DEALLOC_VGPRS)
	s_endpgm
	.section	.rodata,"a",@progbits
	.p2align	6, 0x0
	.amdhsa_kernel _Z6kernelI23warp_striped_to_blockedxLj256ELj1ELj100EEvPKT0_PKjPS1_
		.amdhsa_group_segment_fixed_size 2048
		.amdhsa_private_segment_fixed_size 0
		.amdhsa_kernarg_size 24
		.amdhsa_user_sgpr_count 15
		.amdhsa_user_sgpr_dispatch_ptr 0
		.amdhsa_user_sgpr_queue_ptr 0
		.amdhsa_user_sgpr_kernarg_segment_ptr 1
		.amdhsa_user_sgpr_dispatch_id 0
		.amdhsa_user_sgpr_private_segment_size 0
		.amdhsa_wavefront_size32 1
		.amdhsa_uses_dynamic_stack 0
		.amdhsa_enable_private_segment 0
		.amdhsa_system_sgpr_workgroup_id_x 1
		.amdhsa_system_sgpr_workgroup_id_y 0
		.amdhsa_system_sgpr_workgroup_id_z 0
		.amdhsa_system_sgpr_workgroup_info 0
		.amdhsa_system_vgpr_workitem_id 0
		.amdhsa_next_free_vgpr 5
		.amdhsa_next_free_sgpr 16
		.amdhsa_reserve_vcc 1
		.amdhsa_float_round_mode_32 0
		.amdhsa_float_round_mode_16_64 0
		.amdhsa_float_denorm_mode_32 3
		.amdhsa_float_denorm_mode_16_64 3
		.amdhsa_dx10_clamp 1
		.amdhsa_ieee_mode 1
		.amdhsa_fp16_overflow 0
		.amdhsa_workgroup_processor_mode 1
		.amdhsa_memory_ordered 1
		.amdhsa_forward_progress 0
		.amdhsa_shared_vgpr_count 0
		.amdhsa_exception_fp_ieee_invalid_op 0
		.amdhsa_exception_fp_denorm_src 0
		.amdhsa_exception_fp_ieee_div_zero 0
		.amdhsa_exception_fp_ieee_overflow 0
		.amdhsa_exception_fp_ieee_underflow 0
		.amdhsa_exception_fp_ieee_inexact 0
		.amdhsa_exception_int_div_zero 0
	.end_amdhsa_kernel
	.section	.text._Z6kernelI23warp_striped_to_blockedxLj256ELj1ELj100EEvPKT0_PKjPS1_,"axG",@progbits,_Z6kernelI23warp_striped_to_blockedxLj256ELj1ELj100EEvPKT0_PKjPS1_,comdat
.Lfunc_end102:
	.size	_Z6kernelI23warp_striped_to_blockedxLj256ELj1ELj100EEvPKT0_PKjPS1_, .Lfunc_end102-_Z6kernelI23warp_striped_to_blockedxLj256ELj1ELj100EEvPKT0_PKjPS1_
                                        ; -- End function
	.section	.AMDGPU.csdata,"",@progbits
; Kernel info:
; codeLenInByte = 200
; NumSgprs: 18
; NumVgprs: 5
; ScratchSize: 0
; MemoryBound: 0
; FloatMode: 240
; IeeeMode: 1
; LDSByteSize: 2048 bytes/workgroup (compile time only)
; SGPRBlocks: 2
; VGPRBlocks: 0
; NumSGPRsForWavesPerEU: 18
; NumVGPRsForWavesPerEU: 5
; Occupancy: 16
; WaveLimiterHint : 0
; COMPUTE_PGM_RSRC2:SCRATCH_EN: 0
; COMPUTE_PGM_RSRC2:USER_SGPR: 15
; COMPUTE_PGM_RSRC2:TRAP_HANDLER: 0
; COMPUTE_PGM_RSRC2:TGID_X_EN: 1
; COMPUTE_PGM_RSRC2:TGID_Y_EN: 0
; COMPUTE_PGM_RSRC2:TGID_Z_EN: 0
; COMPUTE_PGM_RSRC2:TIDIG_COMP_CNT: 0
	.section	.text._Z6kernelI23warp_striped_to_blockedxLj256ELj2ELj100EEvPKT0_PKjPS1_,"axG",@progbits,_Z6kernelI23warp_striped_to_blockedxLj256ELj2ELj100EEvPKT0_PKjPS1_,comdat
	.protected	_Z6kernelI23warp_striped_to_blockedxLj256ELj2ELj100EEvPKT0_PKjPS1_ ; -- Begin function _Z6kernelI23warp_striped_to_blockedxLj256ELj2ELj100EEvPKT0_PKjPS1_
	.globl	_Z6kernelI23warp_striped_to_blockedxLj256ELj2ELj100EEvPKT0_PKjPS1_
	.p2align	8
	.type	_Z6kernelI23warp_striped_to_blockedxLj256ELj2ELj100EEvPKT0_PKjPS1_,@function
_Z6kernelI23warp_striped_to_blockedxLj256ELj2ELj100EEvPKT0_PKjPS1_: ; @_Z6kernelI23warp_striped_to_blockedxLj256ELj2ELj100EEvPKT0_PKjPS1_
; %bb.0:
	s_load_b64 s[4:5], s[0:1], 0x0
	v_lshlrev_b32_e32 v5, 1, v0
	v_mbcnt_lo_u32_b32 v6, -1, 0
	s_mov_b32 s3, 0
	s_lshl_b32 s2, s15, 9
	s_delay_alu instid0(VALU_DEP_2) | instskip(NEXT) | instid1(VALU_DEP_2)
	v_and_b32_e32 v7, 0x1c0, v5
	v_lshlrev_b32_e32 v1, 3, v6
	s_lshl_b64 s[2:3], s[2:3], 3
	v_and_or_b32 v0, 0xe0, v0, v6
	s_delay_alu instid0(VALU_DEP_3) | instskip(SKIP_4) | instid1(VALU_DEP_4)
	v_lshlrev_b32_e32 v2, 3, v7
	v_or_b32_e32 v8, v6, v7
	v_or_b32_e32 v9, 32, v7
	v_lshrrev_b32_e32 v6, 2, v7
	v_bfe_u32 v10, v0, 4, 27
	v_lshlrev_b32_e32 v7, 3, v8
	s_delay_alu instid0(VALU_DEP_4)
	v_lshrrev_b32_e32 v8, 2, v9
	v_lshlrev_b32_e32 v9, 1, v0
	s_waitcnt lgkmcnt(0)
	s_add_u32 s4, s4, s2
	s_addc_u32 s5, s5, s3
	v_add_co_u32 v1, s4, s4, v1
	s_delay_alu instid0(VALU_DEP_1) | instskip(SKIP_1) | instid1(VALU_DEP_3)
	v_add_co_ci_u32_e64 v4, null, s5, 0, s4
	v_add_nc_u32_e32 v0, v6, v7
	v_add_co_u32 v3, vcc_lo, v1, v2
	s_delay_alu instid0(VALU_DEP_3)
	v_add_co_ci_u32_e32 v4, vcc_lo, 0, v4, vcc_lo
	v_add_nc_u32_e32 v6, v8, v7
	v_add_lshl_u32 v7, v10, v9, 3
	s_movk_i32 s4, 0x64
	s_clause 0x1
	global_load_b64 v[1:2], v[3:4], off
	global_load_b64 v[3:4], v[3:4], off offset:256
.LBB103_1:                              ; =>This Inner Loop Header: Depth=1
	s_waitcnt vmcnt(1)
	ds_store_b64 v0, v[1:2]
	s_waitcnt vmcnt(0)
	ds_store_b64 v6, v[3:4] offset:256
	; wave barrier
	ds_load_2addr_b64 v[1:4], v7 offset1:1
	s_add_i32 s4, s4, -1
	s_waitcnt lgkmcnt(0)
	s_cmp_lg_u32 s4, 0
	s_barrier
	buffer_gl0_inv
	s_cbranch_scc1 .LBB103_1
; %bb.2:
	s_load_b64 s[0:1], s[0:1], 0x10
	v_lshlrev_b32_e32 v0, 3, v5
	s_waitcnt lgkmcnt(0)
	s_add_u32 s0, s0, s2
	s_addc_u32 s1, s1, s3
	global_store_b128 v0, v[1:4], s[0:1]
	s_nop 0
	s_sendmsg sendmsg(MSG_DEALLOC_VGPRS)
	s_endpgm
	.section	.rodata,"a",@progbits
	.p2align	6, 0x0
	.amdhsa_kernel _Z6kernelI23warp_striped_to_blockedxLj256ELj2ELj100EEvPKT0_PKjPS1_
		.amdhsa_group_segment_fixed_size 4224
		.amdhsa_private_segment_fixed_size 0
		.amdhsa_kernarg_size 24
		.amdhsa_user_sgpr_count 15
		.amdhsa_user_sgpr_dispatch_ptr 0
		.amdhsa_user_sgpr_queue_ptr 0
		.amdhsa_user_sgpr_kernarg_segment_ptr 1
		.amdhsa_user_sgpr_dispatch_id 0
		.amdhsa_user_sgpr_private_segment_size 0
		.amdhsa_wavefront_size32 1
		.amdhsa_uses_dynamic_stack 0
		.amdhsa_enable_private_segment 0
		.amdhsa_system_sgpr_workgroup_id_x 1
		.amdhsa_system_sgpr_workgroup_id_y 0
		.amdhsa_system_sgpr_workgroup_id_z 0
		.amdhsa_system_sgpr_workgroup_info 0
		.amdhsa_system_vgpr_workitem_id 0
		.amdhsa_next_free_vgpr 11
		.amdhsa_next_free_sgpr 16
		.amdhsa_reserve_vcc 1
		.amdhsa_float_round_mode_32 0
		.amdhsa_float_round_mode_16_64 0
		.amdhsa_float_denorm_mode_32 3
		.amdhsa_float_denorm_mode_16_64 3
		.amdhsa_dx10_clamp 1
		.amdhsa_ieee_mode 1
		.amdhsa_fp16_overflow 0
		.amdhsa_workgroup_processor_mode 1
		.amdhsa_memory_ordered 1
		.amdhsa_forward_progress 0
		.amdhsa_shared_vgpr_count 0
		.amdhsa_exception_fp_ieee_invalid_op 0
		.amdhsa_exception_fp_denorm_src 0
		.amdhsa_exception_fp_ieee_div_zero 0
		.amdhsa_exception_fp_ieee_overflow 0
		.amdhsa_exception_fp_ieee_underflow 0
		.amdhsa_exception_fp_ieee_inexact 0
		.amdhsa_exception_int_div_zero 0
	.end_amdhsa_kernel
	.section	.text._Z6kernelI23warp_striped_to_blockedxLj256ELj2ELj100EEvPKT0_PKjPS1_,"axG",@progbits,_Z6kernelI23warp_striped_to_blockedxLj256ELj2ELj100EEvPKT0_PKjPS1_,comdat
.Lfunc_end103:
	.size	_Z6kernelI23warp_striped_to_blockedxLj256ELj2ELj100EEvPKT0_PKjPS1_, .Lfunc_end103-_Z6kernelI23warp_striped_to_blockedxLj256ELj2ELj100EEvPKT0_PKjPS1_
                                        ; -- End function
	.section	.AMDGPU.csdata,"",@progbits
; Kernel info:
; codeLenInByte = 296
; NumSgprs: 18
; NumVgprs: 11
; ScratchSize: 0
; MemoryBound: 0
; FloatMode: 240
; IeeeMode: 1
; LDSByteSize: 4224 bytes/workgroup (compile time only)
; SGPRBlocks: 2
; VGPRBlocks: 1
; NumSGPRsForWavesPerEU: 18
; NumVGPRsForWavesPerEU: 11
; Occupancy: 16
; WaveLimiterHint : 1
; COMPUTE_PGM_RSRC2:SCRATCH_EN: 0
; COMPUTE_PGM_RSRC2:USER_SGPR: 15
; COMPUTE_PGM_RSRC2:TRAP_HANDLER: 0
; COMPUTE_PGM_RSRC2:TGID_X_EN: 1
; COMPUTE_PGM_RSRC2:TGID_Y_EN: 0
; COMPUTE_PGM_RSRC2:TGID_Z_EN: 0
; COMPUTE_PGM_RSRC2:TIDIG_COMP_CNT: 0
	.section	.text._Z6kernelI23warp_striped_to_blockedxLj256ELj3ELj100EEvPKT0_PKjPS1_,"axG",@progbits,_Z6kernelI23warp_striped_to_blockedxLj256ELj3ELj100EEvPKT0_PKjPS1_,comdat
	.protected	_Z6kernelI23warp_striped_to_blockedxLj256ELj3ELj100EEvPKT0_PKjPS1_ ; -- Begin function _Z6kernelI23warp_striped_to_blockedxLj256ELj3ELj100EEvPKT0_PKjPS1_
	.globl	_Z6kernelI23warp_striped_to_blockedxLj256ELj3ELj100EEvPKT0_PKjPS1_
	.p2align	8
	.type	_Z6kernelI23warp_striped_to_blockedxLj256ELj3ELj100EEvPKT0_PKjPS1_,@function
_Z6kernelI23warp_striped_to_blockedxLj256ELj3ELj100EEvPKT0_PKjPS1_: ; @_Z6kernelI23warp_striped_to_blockedxLj256ELj3ELj100EEvPKT0_PKjPS1_
; %bb.0:
	s_load_b64 s[4:5], s[0:1], 0x0
	v_and_b32_e32 v1, 0xe0, v0
	v_mbcnt_lo_u32_b32 v7, -1, 0
	s_mov_b32 s3, 0
	s_mul_i32 s2, s15, 0x300
	v_lshrrev_b32_e32 v9, 5, v0
	v_mul_u32_u24_e32 v1, 3, v1
	v_lshlrev_b32_e32 v8, 3, v7
	s_lshl_b64 s[2:3], s[2:3], 3
	v_mul_u32_u24_e32 v10, 3, v7
	v_mul_u32_u24_e32 v9, 0x60, v9
	v_lshlrev_b32_e32 v1, 3, v1
	s_delay_alu instid0(VALU_DEP_2) | instskip(SKIP_4) | instid1(VALU_DEP_1)
	v_lshl_or_b32 v7, v9, 3, v8
	s_waitcnt lgkmcnt(0)
	s_add_u32 s4, s4, s2
	s_addc_u32 s5, s5, s3
	v_add_co_u32 v2, s4, s4, v8
	v_add_co_ci_u32_e64 v3, null, s5, 0, s4
	v_add_lshl_u32 v8, v10, v9, 3
	s_delay_alu instid0(VALU_DEP_3) | instskip(NEXT) | instid1(VALU_DEP_3)
	v_add_co_u32 v5, vcc_lo, v2, v1
	v_add_co_ci_u32_e32 v6, vcc_lo, 0, v3, vcc_lo
	s_movk_i32 s4, 0x64
	s_clause 0x2
	global_load_b64 v[1:2], v[5:6], off
	global_load_b64 v[3:4], v[5:6], off offset:256
	global_load_b64 v[5:6], v[5:6], off offset:512
.LBB104_1:                              ; =>This Inner Loop Header: Depth=1
	s_waitcnt vmcnt(1)
	ds_store_2addr_b64 v7, v[1:2], v[3:4] offset1:32
	s_waitcnt vmcnt(0)
	ds_store_b64 v7, v[5:6] offset:512
	; wave barrier
	ds_load_2addr_b64 v[1:4], v8 offset1:1
	ds_load_b64 v[5:6], v8 offset:16
	s_add_i32 s4, s4, -1
	s_waitcnt lgkmcnt(0)
	s_cmp_lg_u32 s4, 0
	s_barrier
	buffer_gl0_inv
	s_cbranch_scc1 .LBB104_1
; %bb.2:
	s_load_b64 s[0:1], s[0:1], 0x10
	v_mul_u32_u24_e32 v0, 3, v0
	s_delay_alu instid0(VALU_DEP_1)
	v_lshlrev_b32_e32 v0, 3, v0
	s_waitcnt lgkmcnt(0)
	s_add_u32 s0, s0, s2
	s_addc_u32 s1, s1, s3
	s_clause 0x1
	global_store_b128 v0, v[1:4], s[0:1]
	global_store_b64 v0, v[5:6], s[0:1] offset:16
	s_nop 0
	s_sendmsg sendmsg(MSG_DEALLOC_VGPRS)
	s_endpgm
	.section	.rodata,"a",@progbits
	.p2align	6, 0x0
	.amdhsa_kernel _Z6kernelI23warp_striped_to_blockedxLj256ELj3ELj100EEvPKT0_PKjPS1_
		.amdhsa_group_segment_fixed_size 6144
		.amdhsa_private_segment_fixed_size 0
		.amdhsa_kernarg_size 24
		.amdhsa_user_sgpr_count 15
		.amdhsa_user_sgpr_dispatch_ptr 0
		.amdhsa_user_sgpr_queue_ptr 0
		.amdhsa_user_sgpr_kernarg_segment_ptr 1
		.amdhsa_user_sgpr_dispatch_id 0
		.amdhsa_user_sgpr_private_segment_size 0
		.amdhsa_wavefront_size32 1
		.amdhsa_uses_dynamic_stack 0
		.amdhsa_enable_private_segment 0
		.amdhsa_system_sgpr_workgroup_id_x 1
		.amdhsa_system_sgpr_workgroup_id_y 0
		.amdhsa_system_sgpr_workgroup_id_z 0
		.amdhsa_system_sgpr_workgroup_info 0
		.amdhsa_system_vgpr_workitem_id 0
		.amdhsa_next_free_vgpr 11
		.amdhsa_next_free_sgpr 16
		.amdhsa_reserve_vcc 1
		.amdhsa_float_round_mode_32 0
		.amdhsa_float_round_mode_16_64 0
		.amdhsa_float_denorm_mode_32 3
		.amdhsa_float_denorm_mode_16_64 3
		.amdhsa_dx10_clamp 1
		.amdhsa_ieee_mode 1
		.amdhsa_fp16_overflow 0
		.amdhsa_workgroup_processor_mode 1
		.amdhsa_memory_ordered 1
		.amdhsa_forward_progress 0
		.amdhsa_shared_vgpr_count 0
		.amdhsa_exception_fp_ieee_invalid_op 0
		.amdhsa_exception_fp_denorm_src 0
		.amdhsa_exception_fp_ieee_div_zero 0
		.amdhsa_exception_fp_ieee_overflow 0
		.amdhsa_exception_fp_ieee_underflow 0
		.amdhsa_exception_fp_ieee_inexact 0
		.amdhsa_exception_int_div_zero 0
	.end_amdhsa_kernel
	.section	.text._Z6kernelI23warp_striped_to_blockedxLj256ELj3ELj100EEvPKT0_PKjPS1_,"axG",@progbits,_Z6kernelI23warp_striped_to_blockedxLj256ELj3ELj100EEvPKT0_PKjPS1_,comdat
.Lfunc_end104:
	.size	_Z6kernelI23warp_striped_to_blockedxLj256ELj3ELj100EEvPKT0_PKjPS1_, .Lfunc_end104-_Z6kernelI23warp_striped_to_blockedxLj256ELj3ELj100EEvPKT0_PKjPS1_
                                        ; -- End function
	.section	.AMDGPU.csdata,"",@progbits
; Kernel info:
; codeLenInByte = 296
; NumSgprs: 18
; NumVgprs: 11
; ScratchSize: 0
; MemoryBound: 0
; FloatMode: 240
; IeeeMode: 1
; LDSByteSize: 6144 bytes/workgroup (compile time only)
; SGPRBlocks: 2
; VGPRBlocks: 1
; NumSGPRsForWavesPerEU: 18
; NumVGPRsForWavesPerEU: 11
; Occupancy: 16
; WaveLimiterHint : 1
; COMPUTE_PGM_RSRC2:SCRATCH_EN: 0
; COMPUTE_PGM_RSRC2:USER_SGPR: 15
; COMPUTE_PGM_RSRC2:TRAP_HANDLER: 0
; COMPUTE_PGM_RSRC2:TGID_X_EN: 1
; COMPUTE_PGM_RSRC2:TGID_Y_EN: 0
; COMPUTE_PGM_RSRC2:TGID_Z_EN: 0
; COMPUTE_PGM_RSRC2:TIDIG_COMP_CNT: 0
	.section	.text._Z6kernelI23warp_striped_to_blockedxLj256ELj4ELj100EEvPKT0_PKjPS1_,"axG",@progbits,_Z6kernelI23warp_striped_to_blockedxLj256ELj4ELj100EEvPKT0_PKjPS1_,comdat
	.protected	_Z6kernelI23warp_striped_to_blockedxLj256ELj4ELj100EEvPKT0_PKjPS1_ ; -- Begin function _Z6kernelI23warp_striped_to_blockedxLj256ELj4ELj100EEvPKT0_PKjPS1_
	.globl	_Z6kernelI23warp_striped_to_blockedxLj256ELj4ELj100EEvPKT0_PKjPS1_
	.p2align	8
	.type	_Z6kernelI23warp_striped_to_blockedxLj256ELj4ELj100EEvPKT0_PKjPS1_,@function
_Z6kernelI23warp_striped_to_blockedxLj256ELj4ELj100EEvPKT0_PKjPS1_: ; @_Z6kernelI23warp_striped_to_blockedxLj256ELj4ELj100EEvPKT0_PKjPS1_
; %bb.0:
	s_load_b64 s[4:5], s[0:1], 0x0
	v_lshlrev_b32_e32 v9, 2, v0
	v_mbcnt_lo_u32_b32 v10, -1, 0
	s_mov_b32 s3, 0
	s_lshl_b32 s2, s15, 10
	s_delay_alu instid0(VALU_DEP_2) | instskip(NEXT) | instid1(VALU_DEP_2)
	v_and_b32_e32 v11, 0x380, v9
	v_lshlrev_b32_e32 v1, 3, v10
	s_lshl_b64 s[2:3], s[2:3], 3
	v_and_or_b32 v0, 0xe0, v0, v10
	s_delay_alu instid0(VALU_DEP_3)
	v_lshlrev_b32_e32 v2, 3, v11
	v_or_b32_e32 v12, v10, v11
	v_lshrrev_b32_e32 v13, 2, v11
	v_or_b32_e32 v14, 32, v11
	v_or_b32_e32 v15, 64, v11
	;; [unrolled: 1-line block ×3, first 2 shown]
	v_lshlrev_b32_e32 v12, 3, v12
	v_lshlrev_b32_e32 v16, 2, v0
	v_lshrrev_b32_e32 v10, 2, v14
	s_waitcnt lgkmcnt(0)
	s_add_u32 s4, s4, s2
	s_addc_u32 s5, s5, s3
	v_add_co_u32 v1, s4, s4, v1
	s_delay_alu instid0(VALU_DEP_1) | instskip(SKIP_1) | instid1(VALU_DEP_3)
	v_add_co_ci_u32_e64 v3, null, s5, 0, s4
	v_lshrrev_b32_e32 v14, 2, v15
	v_add_co_u32 v7, vcc_lo, v1, v2
	s_delay_alu instid0(VALU_DEP_3)
	v_add_co_ci_u32_e32 v8, vcc_lo, 0, v3, vcc_lo
	v_lshrrev_b32_e32 v15, 2, v11
	v_bfe_u32 v17, v0, 3, 27
	v_add_nc_u32_e32 v0, v13, v12
	s_clause 0x3
	global_load_b64 v[1:2], v[7:8], off
	global_load_b64 v[3:4], v[7:8], off offset:256
	global_load_b64 v[5:6], v[7:8], off offset:512
	;; [unrolled: 1-line block ×3, first 2 shown]
	v_add_nc_u32_e32 v10, v10, v12
	v_add_nc_u32_e32 v11, v14, v12
	;; [unrolled: 1-line block ×3, first 2 shown]
	v_add_lshl_u32 v13, v17, v16, 3
	s_movk_i32 s4, 0x64
.LBB105_1:                              ; =>This Inner Loop Header: Depth=1
	s_waitcnt vmcnt(3)
	ds_store_b64 v0, v[1:2]
	s_waitcnt vmcnt(2)
	ds_store_b64 v10, v[3:4] offset:256
	s_waitcnt vmcnt(1)
	ds_store_b64 v11, v[5:6] offset:512
	;; [unrolled: 2-line block ×3, first 2 shown]
	; wave barrier
	ds_load_2addr_b64 v[1:4], v13 offset1:1
	ds_load_2addr_b64 v[5:8], v13 offset0:2 offset1:3
	s_add_i32 s4, s4, -1
	s_waitcnt lgkmcnt(0)
	s_cmp_lg_u32 s4, 0
	s_barrier
	buffer_gl0_inv
	s_cbranch_scc1 .LBB105_1
; %bb.2:
	s_load_b64 s[0:1], s[0:1], 0x10
	v_lshlrev_b32_e32 v0, 3, v9
	s_waitcnt lgkmcnt(0)
	s_add_u32 s0, s0, s2
	s_addc_u32 s1, s1, s3
	s_clause 0x1
	global_store_b128 v0, v[1:4], s[0:1]
	global_store_b128 v0, v[5:8], s[0:1] offset:16
	s_nop 0
	s_sendmsg sendmsg(MSG_DEALLOC_VGPRS)
	s_endpgm
	.section	.rodata,"a",@progbits
	.p2align	6, 0x0
	.amdhsa_kernel _Z6kernelI23warp_striped_to_blockedxLj256ELj4ELj100EEvPKT0_PKjPS1_
		.amdhsa_group_segment_fixed_size 8448
		.amdhsa_private_segment_fixed_size 0
		.amdhsa_kernarg_size 24
		.amdhsa_user_sgpr_count 15
		.amdhsa_user_sgpr_dispatch_ptr 0
		.amdhsa_user_sgpr_queue_ptr 0
		.amdhsa_user_sgpr_kernarg_segment_ptr 1
		.amdhsa_user_sgpr_dispatch_id 0
		.amdhsa_user_sgpr_private_segment_size 0
		.amdhsa_wavefront_size32 1
		.amdhsa_uses_dynamic_stack 0
		.amdhsa_enable_private_segment 0
		.amdhsa_system_sgpr_workgroup_id_x 1
		.amdhsa_system_sgpr_workgroup_id_y 0
		.amdhsa_system_sgpr_workgroup_id_z 0
		.amdhsa_system_sgpr_workgroup_info 0
		.amdhsa_system_vgpr_workitem_id 0
		.amdhsa_next_free_vgpr 18
		.amdhsa_next_free_sgpr 16
		.amdhsa_reserve_vcc 1
		.amdhsa_float_round_mode_32 0
		.amdhsa_float_round_mode_16_64 0
		.amdhsa_float_denorm_mode_32 3
		.amdhsa_float_denorm_mode_16_64 3
		.amdhsa_dx10_clamp 1
		.amdhsa_ieee_mode 1
		.amdhsa_fp16_overflow 0
		.amdhsa_workgroup_processor_mode 1
		.amdhsa_memory_ordered 1
		.amdhsa_forward_progress 0
		.amdhsa_shared_vgpr_count 0
		.amdhsa_exception_fp_ieee_invalid_op 0
		.amdhsa_exception_fp_denorm_src 0
		.amdhsa_exception_fp_ieee_div_zero 0
		.amdhsa_exception_fp_ieee_overflow 0
		.amdhsa_exception_fp_ieee_underflow 0
		.amdhsa_exception_fp_ieee_inexact 0
		.amdhsa_exception_int_div_zero 0
	.end_amdhsa_kernel
	.section	.text._Z6kernelI23warp_striped_to_blockedxLj256ELj4ELj100EEvPKT0_PKjPS1_,"axG",@progbits,_Z6kernelI23warp_striped_to_blockedxLj256ELj4ELj100EEvPKT0_PKjPS1_,comdat
.Lfunc_end105:
	.size	_Z6kernelI23warp_striped_to_blockedxLj256ELj4ELj100EEvPKT0_PKjPS1_, .Lfunc_end105-_Z6kernelI23warp_striped_to_blockedxLj256ELj4ELj100EEvPKT0_PKjPS1_
                                        ; -- End function
	.section	.AMDGPU.csdata,"",@progbits
; Kernel info:
; codeLenInByte = 380
; NumSgprs: 18
; NumVgprs: 18
; ScratchSize: 0
; MemoryBound: 0
; FloatMode: 240
; IeeeMode: 1
; LDSByteSize: 8448 bytes/workgroup (compile time only)
; SGPRBlocks: 2
; VGPRBlocks: 2
; NumSGPRsForWavesPerEU: 18
; NumVGPRsForWavesPerEU: 18
; Occupancy: 16
; WaveLimiterHint : 1
; COMPUTE_PGM_RSRC2:SCRATCH_EN: 0
; COMPUTE_PGM_RSRC2:USER_SGPR: 15
; COMPUTE_PGM_RSRC2:TRAP_HANDLER: 0
; COMPUTE_PGM_RSRC2:TGID_X_EN: 1
; COMPUTE_PGM_RSRC2:TGID_Y_EN: 0
; COMPUTE_PGM_RSRC2:TGID_Z_EN: 0
; COMPUTE_PGM_RSRC2:TIDIG_COMP_CNT: 0
	.section	.text._Z6kernelI23warp_striped_to_blockedxLj256ELj7ELj100EEvPKT0_PKjPS1_,"axG",@progbits,_Z6kernelI23warp_striped_to_blockedxLj256ELj7ELj100EEvPKT0_PKjPS1_,comdat
	.protected	_Z6kernelI23warp_striped_to_blockedxLj256ELj7ELj100EEvPKT0_PKjPS1_ ; -- Begin function _Z6kernelI23warp_striped_to_blockedxLj256ELj7ELj100EEvPKT0_PKjPS1_
	.globl	_Z6kernelI23warp_striped_to_blockedxLj256ELj7ELj100EEvPKT0_PKjPS1_
	.p2align	8
	.type	_Z6kernelI23warp_striped_to_blockedxLj256ELj7ELj100EEvPKT0_PKjPS1_,@function
_Z6kernelI23warp_striped_to_blockedxLj256ELj7ELj100EEvPKT0_PKjPS1_: ; @_Z6kernelI23warp_striped_to_blockedxLj256ELj7ELj100EEvPKT0_PKjPS1_
; %bb.0:
	s_load_b64 s[4:5], s[0:1], 0x0
	v_and_b32_e32 v1, 0xe0, v0
	v_mbcnt_lo_u32_b32 v15, -1, 0
	s_mov_b32 s3, 0
	s_mul_i32 s2, s15, 0x700
	v_lshrrev_b32_e32 v17, 5, v0
	v_mul_u32_u24_e32 v1, 7, v1
	v_lshlrev_b32_e32 v16, 3, v15
	s_lshl_b64 s[2:3], s[2:3], 3
	v_mul_u32_u24_e32 v18, 7, v15
	v_mul_u32_u24_e32 v17, 0xe0, v17
	v_lshlrev_b32_e32 v1, 3, v1
	s_delay_alu instid0(VALU_DEP_2) | instskip(SKIP_4) | instid1(VALU_DEP_1)
	v_lshl_or_b32 v15, v17, 3, v16
	s_waitcnt lgkmcnt(0)
	s_add_u32 s4, s4, s2
	s_addc_u32 s5, s5, s3
	v_add_co_u32 v2, s4, s4, v16
	v_add_co_ci_u32_e64 v3, null, s5, 0, s4
	v_add_lshl_u32 v16, v18, v17, 3
	s_delay_alu instid0(VALU_DEP_3) | instskip(NEXT) | instid1(VALU_DEP_3)
	v_add_co_u32 v13, vcc_lo, v2, v1
	v_add_co_ci_u32_e32 v14, vcc_lo, 0, v3, vcc_lo
	s_movk_i32 s4, 0x64
	s_clause 0x6
	global_load_b64 v[1:2], v[13:14], off
	global_load_b64 v[3:4], v[13:14], off offset:256
	global_load_b64 v[5:6], v[13:14], off offset:512
	;; [unrolled: 1-line block ×6, first 2 shown]
	.p2align	6
.LBB106_1:                              ; =>This Inner Loop Header: Depth=1
	s_waitcnt vmcnt(5)
	ds_store_2addr_b64 v15, v[1:2], v[3:4] offset1:32
	s_waitcnt vmcnt(3)
	ds_store_2addr_b64 v15, v[5:6], v[7:8] offset0:64 offset1:96
	s_waitcnt vmcnt(1)
	ds_store_2addr_b64 v15, v[9:10], v[11:12] offset0:128 offset1:160
	s_waitcnt vmcnt(0)
	ds_store_b64 v15, v[13:14] offset:1536
	; wave barrier
	ds_load_2addr_b64 v[1:4], v16 offset1:1
	ds_load_2addr_b64 v[5:8], v16 offset0:2 offset1:3
	ds_load_2addr_b64 v[9:12], v16 offset0:4 offset1:5
	ds_load_b64 v[13:14], v16 offset:48
	s_add_i32 s4, s4, -1
	s_waitcnt lgkmcnt(0)
	s_cmp_lg_u32 s4, 0
	s_barrier
	buffer_gl0_inv
	s_cbranch_scc1 .LBB106_1
; %bb.2:
	s_load_b64 s[0:1], s[0:1], 0x10
	v_mul_u32_u24_e32 v0, 7, v0
	s_delay_alu instid0(VALU_DEP_1)
	v_lshlrev_b32_e32 v0, 3, v0
	s_waitcnt lgkmcnt(0)
	s_add_u32 s0, s0, s2
	s_addc_u32 s1, s1, s3
	s_clause 0x3
	global_store_b128 v0, v[1:4], s[0:1]
	global_store_b128 v0, v[5:8], s[0:1] offset:16
	global_store_b128 v0, v[9:12], s[0:1] offset:32
	global_store_b64 v0, v[13:14], s[0:1] offset:48
	s_nop 0
	s_sendmsg sendmsg(MSG_DEALLOC_VGPRS)
	s_endpgm
	.section	.rodata,"a",@progbits
	.p2align	6, 0x0
	.amdhsa_kernel _Z6kernelI23warp_striped_to_blockedxLj256ELj7ELj100EEvPKT0_PKjPS1_
		.amdhsa_group_segment_fixed_size 14336
		.amdhsa_private_segment_fixed_size 0
		.amdhsa_kernarg_size 24
		.amdhsa_user_sgpr_count 15
		.amdhsa_user_sgpr_dispatch_ptr 0
		.amdhsa_user_sgpr_queue_ptr 0
		.amdhsa_user_sgpr_kernarg_segment_ptr 1
		.amdhsa_user_sgpr_dispatch_id 0
		.amdhsa_user_sgpr_private_segment_size 0
		.amdhsa_wavefront_size32 1
		.amdhsa_uses_dynamic_stack 0
		.amdhsa_enable_private_segment 0
		.amdhsa_system_sgpr_workgroup_id_x 1
		.amdhsa_system_sgpr_workgroup_id_y 0
		.amdhsa_system_sgpr_workgroup_id_z 0
		.amdhsa_system_sgpr_workgroup_info 0
		.amdhsa_system_vgpr_workitem_id 0
		.amdhsa_next_free_vgpr 19
		.amdhsa_next_free_sgpr 16
		.amdhsa_reserve_vcc 1
		.amdhsa_float_round_mode_32 0
		.amdhsa_float_round_mode_16_64 0
		.amdhsa_float_denorm_mode_32 3
		.amdhsa_float_denorm_mode_16_64 3
		.amdhsa_dx10_clamp 1
		.amdhsa_ieee_mode 1
		.amdhsa_fp16_overflow 0
		.amdhsa_workgroup_processor_mode 1
		.amdhsa_memory_ordered 1
		.amdhsa_forward_progress 0
		.amdhsa_shared_vgpr_count 0
		.amdhsa_exception_fp_ieee_invalid_op 0
		.amdhsa_exception_fp_denorm_src 0
		.amdhsa_exception_fp_ieee_div_zero 0
		.amdhsa_exception_fp_ieee_overflow 0
		.amdhsa_exception_fp_ieee_underflow 0
		.amdhsa_exception_fp_ieee_inexact 0
		.amdhsa_exception_int_div_zero 0
	.end_amdhsa_kernel
	.section	.text._Z6kernelI23warp_striped_to_blockedxLj256ELj7ELj100EEvPKT0_PKjPS1_,"axG",@progbits,_Z6kernelI23warp_striped_to_blockedxLj256ELj7ELj100EEvPKT0_PKjPS1_,comdat
.Lfunc_end106:
	.size	_Z6kernelI23warp_striped_to_blockedxLj256ELj7ELj100EEvPKT0_PKjPS1_, .Lfunc_end106-_Z6kernelI23warp_striped_to_blockedxLj256ELj7ELj100EEvPKT0_PKjPS1_
                                        ; -- End function
	.section	.AMDGPU.csdata,"",@progbits
; Kernel info:
; codeLenInByte = 384
; NumSgprs: 18
; NumVgprs: 19
; ScratchSize: 0
; MemoryBound: 0
; FloatMode: 240
; IeeeMode: 1
; LDSByteSize: 14336 bytes/workgroup (compile time only)
; SGPRBlocks: 2
; VGPRBlocks: 2
; NumSGPRsForWavesPerEU: 18
; NumVGPRsForWavesPerEU: 19
; Occupancy: 16
; WaveLimiterHint : 1
; COMPUTE_PGM_RSRC2:SCRATCH_EN: 0
; COMPUTE_PGM_RSRC2:USER_SGPR: 15
; COMPUTE_PGM_RSRC2:TRAP_HANDLER: 0
; COMPUTE_PGM_RSRC2:TGID_X_EN: 1
; COMPUTE_PGM_RSRC2:TGID_Y_EN: 0
; COMPUTE_PGM_RSRC2:TGID_Z_EN: 0
; COMPUTE_PGM_RSRC2:TIDIG_COMP_CNT: 0
	.section	.text._Z6kernelI23warp_striped_to_blockedxLj256ELj8ELj100EEvPKT0_PKjPS1_,"axG",@progbits,_Z6kernelI23warp_striped_to_blockedxLj256ELj8ELj100EEvPKT0_PKjPS1_,comdat
	.protected	_Z6kernelI23warp_striped_to_blockedxLj256ELj8ELj100EEvPKT0_PKjPS1_ ; -- Begin function _Z6kernelI23warp_striped_to_blockedxLj256ELj8ELj100EEvPKT0_PKjPS1_
	.globl	_Z6kernelI23warp_striped_to_blockedxLj256ELj8ELj100EEvPKT0_PKjPS1_
	.p2align	8
	.type	_Z6kernelI23warp_striped_to_blockedxLj256ELj8ELj100EEvPKT0_PKjPS1_,@function
_Z6kernelI23warp_striped_to_blockedxLj256ELj8ELj100EEvPKT0_PKjPS1_: ; @_Z6kernelI23warp_striped_to_blockedxLj256ELj8ELj100EEvPKT0_PKjPS1_
; %bb.0:
	s_load_b64 s[4:5], s[0:1], 0x0
	v_lshlrev_b32_e32 v17, 3, v0
	v_mbcnt_lo_u32_b32 v22, -1, 0
	s_mov_b32 s3, 0
	s_lshl_b32 s2, s15, 11
	s_delay_alu instid0(VALU_DEP_2) | instskip(NEXT) | instid1(VALU_DEP_2)
	v_and_b32_e32 v23, 0x700, v17
	v_lshlrev_b32_e32 v1, 3, v22
	s_lshl_b64 s[2:3], s[2:3], 3
	v_and_or_b32 v0, 0xe0, v0, v22
	s_delay_alu instid0(VALU_DEP_3)
	v_lshlrev_b32_e32 v2, 3, v23
	v_or_b32_e32 v18, v22, v23
	v_lshrrev_b32_e32 v24, 2, v23
	v_or_b32_e32 v19, 32, v23
	v_or_b32_e32 v20, 64, v23
	;; [unrolled: 1-line block ×3, first 2 shown]
	v_lshlrev_b32_e32 v25, 3, v18
	v_or_b32_e32 v26, 0xa0, v23
	v_or_b32_e32 v27, 0xc0, v23
	s_waitcnt lgkmcnt(0)
	s_add_u32 s4, s4, s2
	s_addc_u32 s5, s5, s3
	v_add_co_u32 v1, s4, s4, v1
	s_delay_alu instid0(VALU_DEP_1) | instskip(SKIP_1) | instid1(VALU_DEP_3)
	v_add_co_ci_u32_e64 v3, null, s5, 0, s4
	v_add_nc_u32_e32 v18, v24, v25
	v_add_co_u32 v15, vcc_lo, v1, v2
	s_delay_alu instid0(VALU_DEP_3)
	v_add_co_ci_u32_e32 v16, vcc_lo, 0, v3, vcc_lo
	v_or_b32_e32 v24, 0x80, v23
	v_or_b32_e32 v23, 0xe0, v23
	v_lshrrev_b32_e32 v19, 2, v19
	s_clause 0x7
	global_load_b64 v[1:2], v[15:16], off
	global_load_b64 v[3:4], v[15:16], off offset:256
	global_load_b64 v[5:6], v[15:16], off offset:512
	;; [unrolled: 1-line block ×7, first 2 shown]
	v_lshrrev_b32_e32 v20, 2, v20
	v_lshrrev_b32_e32 v21, 2, v21
	;; [unrolled: 1-line block ×6, first 2 shown]
	v_lshlrev_b32_e32 v28, 3, v0
	v_bfe_u32 v29, v0, 2, 27
	v_add_nc_u32_e32 v19, v19, v25
	v_add_nc_u32_e32 v20, v20, v25
	;; [unrolled: 1-line block ×7, first 2 shown]
	v_add_lshl_u32 v25, v29, v28, 3
	s_movk_i32 s4, 0x64
	.p2align	6
.LBB107_1:                              ; =>This Inner Loop Header: Depth=1
	s_waitcnt vmcnt(7)
	ds_store_b64 v18, v[1:2]
	s_waitcnt vmcnt(6)
	ds_store_b64 v19, v[3:4] offset:256
	s_waitcnt vmcnt(5)
	ds_store_b64 v20, v[5:6] offset:512
	;; [unrolled: 2-line block ×7, first 2 shown]
	; wave barrier
	ds_load_2addr_b64 v[1:4], v25 offset1:1
	ds_load_2addr_b64 v[5:8], v25 offset0:2 offset1:3
	ds_load_2addr_b64 v[9:12], v25 offset0:4 offset1:5
	;; [unrolled: 1-line block ×3, first 2 shown]
	s_add_i32 s4, s4, -1
	s_waitcnt lgkmcnt(0)
	s_cmp_lg_u32 s4, 0
	s_barrier
	buffer_gl0_inv
	s_cbranch_scc1 .LBB107_1
; %bb.2:
	s_load_b64 s[0:1], s[0:1], 0x10
	v_lshlrev_b32_e32 v0, 3, v17
	s_waitcnt lgkmcnt(0)
	s_add_u32 s0, s0, s2
	s_addc_u32 s1, s1, s3
	s_clause 0x3
	global_store_b128 v0, v[1:4], s[0:1]
	global_store_b128 v0, v[5:8], s[0:1] offset:16
	global_store_b128 v0, v[9:12], s[0:1] offset:32
	global_store_b128 v0, v[13:16], s[0:1] offset:48
	s_nop 0
	s_sendmsg sendmsg(MSG_DEALLOC_VGPRS)
	s_endpgm
	.section	.rodata,"a",@progbits
	.p2align	6, 0x0
	.amdhsa_kernel _Z6kernelI23warp_striped_to_blockedxLj256ELj8ELj100EEvPKT0_PKjPS1_
		.amdhsa_group_segment_fixed_size 16896
		.amdhsa_private_segment_fixed_size 0
		.amdhsa_kernarg_size 24
		.amdhsa_user_sgpr_count 15
		.amdhsa_user_sgpr_dispatch_ptr 0
		.amdhsa_user_sgpr_queue_ptr 0
		.amdhsa_user_sgpr_kernarg_segment_ptr 1
		.amdhsa_user_sgpr_dispatch_id 0
		.amdhsa_user_sgpr_private_segment_size 0
		.amdhsa_wavefront_size32 1
		.amdhsa_uses_dynamic_stack 0
		.amdhsa_enable_private_segment 0
		.amdhsa_system_sgpr_workgroup_id_x 1
		.amdhsa_system_sgpr_workgroup_id_y 0
		.amdhsa_system_sgpr_workgroup_id_z 0
		.amdhsa_system_sgpr_workgroup_info 0
		.amdhsa_system_vgpr_workitem_id 0
		.amdhsa_next_free_vgpr 30
		.amdhsa_next_free_sgpr 16
		.amdhsa_reserve_vcc 1
		.amdhsa_float_round_mode_32 0
		.amdhsa_float_round_mode_16_64 0
		.amdhsa_float_denorm_mode_32 3
		.amdhsa_float_denorm_mode_16_64 3
		.amdhsa_dx10_clamp 1
		.amdhsa_ieee_mode 1
		.amdhsa_fp16_overflow 0
		.amdhsa_workgroup_processor_mode 1
		.amdhsa_memory_ordered 1
		.amdhsa_forward_progress 0
		.amdhsa_shared_vgpr_count 0
		.amdhsa_exception_fp_ieee_invalid_op 0
		.amdhsa_exception_fp_denorm_src 0
		.amdhsa_exception_fp_ieee_div_zero 0
		.amdhsa_exception_fp_ieee_overflow 0
		.amdhsa_exception_fp_ieee_underflow 0
		.amdhsa_exception_fp_ieee_inexact 0
		.amdhsa_exception_int_div_zero 0
	.end_amdhsa_kernel
	.section	.text._Z6kernelI23warp_striped_to_blockedxLj256ELj8ELj100EEvPKT0_PKjPS1_,"axG",@progbits,_Z6kernelI23warp_striped_to_blockedxLj256ELj8ELj100EEvPKT0_PKjPS1_,comdat
.Lfunc_end107:
	.size	_Z6kernelI23warp_striped_to_blockedxLj256ELj8ELj100EEvPKT0_PKjPS1_, .Lfunc_end107-_Z6kernelI23warp_striped_to_blockedxLj256ELj8ELj100EEvPKT0_PKjPS1_
                                        ; -- End function
	.section	.AMDGPU.csdata,"",@progbits
; Kernel info:
; codeLenInByte = 556
; NumSgprs: 18
; NumVgprs: 30
; ScratchSize: 0
; MemoryBound: 0
; FloatMode: 240
; IeeeMode: 1
; LDSByteSize: 16896 bytes/workgroup (compile time only)
; SGPRBlocks: 2
; VGPRBlocks: 3
; NumSGPRsForWavesPerEU: 18
; NumVGPRsForWavesPerEU: 30
; Occupancy: 14
; WaveLimiterHint : 1
; COMPUTE_PGM_RSRC2:SCRATCH_EN: 0
; COMPUTE_PGM_RSRC2:USER_SGPR: 15
; COMPUTE_PGM_RSRC2:TRAP_HANDLER: 0
; COMPUTE_PGM_RSRC2:TGID_X_EN: 1
; COMPUTE_PGM_RSRC2:TGID_Y_EN: 0
; COMPUTE_PGM_RSRC2:TGID_Z_EN: 0
; COMPUTE_PGM_RSRC2:TIDIG_COMP_CNT: 0
	.section	.text._Z6kernelI23warp_striped_to_blockedN15benchmark_utils11custom_typeIffEELj256ELj1ELj100EEvPKT0_PKjPS4_,"axG",@progbits,_Z6kernelI23warp_striped_to_blockedN15benchmark_utils11custom_typeIffEELj256ELj1ELj100EEvPKT0_PKjPS4_,comdat
	.protected	_Z6kernelI23warp_striped_to_blockedN15benchmark_utils11custom_typeIffEELj256ELj1ELj100EEvPKT0_PKjPS4_ ; -- Begin function _Z6kernelI23warp_striped_to_blockedN15benchmark_utils11custom_typeIffEELj256ELj1ELj100EEvPKT0_PKjPS4_
	.globl	_Z6kernelI23warp_striped_to_blockedN15benchmark_utils11custom_typeIffEELj256ELj1ELj100EEvPKT0_PKjPS4_
	.p2align	8
	.type	_Z6kernelI23warp_striped_to_blockedN15benchmark_utils11custom_typeIffEELj256ELj1ELj100EEvPKT0_PKjPS4_,@function
_Z6kernelI23warp_striped_to_blockedN15benchmark_utils11custom_typeIffEELj256ELj1ELj100EEvPKT0_PKjPS4_: ; @_Z6kernelI23warp_striped_to_blockedN15benchmark_utils11custom_typeIffEELj256ELj1ELj100EEvPKT0_PKjPS4_
; %bb.0:
	s_load_b64 s[4:5], s[0:1], 0x0
	v_mbcnt_lo_u32_b32 v1, -1, 0
	s_mov_b32 s3, 0
	s_lshl_b32 s2, s15, 8
	v_and_b32_e32 v2, 0xe0, v0
	s_lshl_b64 s[2:3], s[2:3], 3
	v_lshlrev_b32_e32 v3, 3, v1
	s_delay_alu instid0(VALU_DEP_2) | instskip(SKIP_4) | instid1(VALU_DEP_1)
	v_lshlrev_b32_e32 v4, 3, v2
	s_waitcnt lgkmcnt(0)
	s_add_u32 s4, s4, s2
	s_addc_u32 s5, s5, s3
	v_add_co_u32 v1, s4, s4, v3
	v_add_co_ci_u32_e64 v2, null, s5, 0, s4
	v_or_b32_e32 v3, v3, v4
	s_delay_alu instid0(VALU_DEP_3) | instskip(NEXT) | instid1(VALU_DEP_3)
	v_add_co_u32 v1, vcc_lo, v1, v4
	v_add_co_ci_u32_e32 v2, vcc_lo, 0, v2, vcc_lo
	s_movk_i32 s4, 0x64
	global_load_b64 v[1:2], v[1:2], off
.LBB108_1:                              ; =>This Inner Loop Header: Depth=1
	s_waitcnt vmcnt(0)
	ds_store_b64 v3, v[1:2]
	; wave barrier
	ds_load_b64 v[1:2], v3
	s_add_i32 s4, s4, -1
	s_waitcnt lgkmcnt(0)
	s_cmp_lg_u32 s4, 0
	s_barrier
	buffer_gl0_inv
	s_cbranch_scc1 .LBB108_1
; %bb.2:
	s_load_b64 s[0:1], s[0:1], 0x10
	v_lshlrev_b32_e32 v0, 3, v0
	s_waitcnt lgkmcnt(0)
	s_add_u32 s0, s0, s2
	s_addc_u32 s1, s1, s3
	global_store_b64 v0, v[1:2], s[0:1]
	s_nop 0
	s_sendmsg sendmsg(MSG_DEALLOC_VGPRS)
	s_endpgm
	.section	.rodata,"a",@progbits
	.p2align	6, 0x0
	.amdhsa_kernel _Z6kernelI23warp_striped_to_blockedN15benchmark_utils11custom_typeIffEELj256ELj1ELj100EEvPKT0_PKjPS4_
		.amdhsa_group_segment_fixed_size 2048
		.amdhsa_private_segment_fixed_size 0
		.amdhsa_kernarg_size 24
		.amdhsa_user_sgpr_count 15
		.amdhsa_user_sgpr_dispatch_ptr 0
		.amdhsa_user_sgpr_queue_ptr 0
		.amdhsa_user_sgpr_kernarg_segment_ptr 1
		.amdhsa_user_sgpr_dispatch_id 0
		.amdhsa_user_sgpr_private_segment_size 0
		.amdhsa_wavefront_size32 1
		.amdhsa_uses_dynamic_stack 0
		.amdhsa_enable_private_segment 0
		.amdhsa_system_sgpr_workgroup_id_x 1
		.amdhsa_system_sgpr_workgroup_id_y 0
		.amdhsa_system_sgpr_workgroup_id_z 0
		.amdhsa_system_sgpr_workgroup_info 0
		.amdhsa_system_vgpr_workitem_id 0
		.amdhsa_next_free_vgpr 5
		.amdhsa_next_free_sgpr 16
		.amdhsa_reserve_vcc 1
		.amdhsa_float_round_mode_32 0
		.amdhsa_float_round_mode_16_64 0
		.amdhsa_float_denorm_mode_32 3
		.amdhsa_float_denorm_mode_16_64 3
		.amdhsa_dx10_clamp 1
		.amdhsa_ieee_mode 1
		.amdhsa_fp16_overflow 0
		.amdhsa_workgroup_processor_mode 1
		.amdhsa_memory_ordered 1
		.amdhsa_forward_progress 0
		.amdhsa_shared_vgpr_count 0
		.amdhsa_exception_fp_ieee_invalid_op 0
		.amdhsa_exception_fp_denorm_src 0
		.amdhsa_exception_fp_ieee_div_zero 0
		.amdhsa_exception_fp_ieee_overflow 0
		.amdhsa_exception_fp_ieee_underflow 0
		.amdhsa_exception_fp_ieee_inexact 0
		.amdhsa_exception_int_div_zero 0
	.end_amdhsa_kernel
	.section	.text._Z6kernelI23warp_striped_to_blockedN15benchmark_utils11custom_typeIffEELj256ELj1ELj100EEvPKT0_PKjPS4_,"axG",@progbits,_Z6kernelI23warp_striped_to_blockedN15benchmark_utils11custom_typeIffEELj256ELj1ELj100EEvPKT0_PKjPS4_,comdat
.Lfunc_end108:
	.size	_Z6kernelI23warp_striped_to_blockedN15benchmark_utils11custom_typeIffEELj256ELj1ELj100EEvPKT0_PKjPS4_, .Lfunc_end108-_Z6kernelI23warp_striped_to_blockedN15benchmark_utils11custom_typeIffEELj256ELj1ELj100EEvPKT0_PKjPS4_
                                        ; -- End function
	.section	.AMDGPU.csdata,"",@progbits
; Kernel info:
; codeLenInByte = 200
; NumSgprs: 18
; NumVgprs: 5
; ScratchSize: 0
; MemoryBound: 0
; FloatMode: 240
; IeeeMode: 1
; LDSByteSize: 2048 bytes/workgroup (compile time only)
; SGPRBlocks: 2
; VGPRBlocks: 0
; NumSGPRsForWavesPerEU: 18
; NumVGPRsForWavesPerEU: 5
; Occupancy: 16
; WaveLimiterHint : 0
; COMPUTE_PGM_RSRC2:SCRATCH_EN: 0
; COMPUTE_PGM_RSRC2:USER_SGPR: 15
; COMPUTE_PGM_RSRC2:TRAP_HANDLER: 0
; COMPUTE_PGM_RSRC2:TGID_X_EN: 1
; COMPUTE_PGM_RSRC2:TGID_Y_EN: 0
; COMPUTE_PGM_RSRC2:TGID_Z_EN: 0
; COMPUTE_PGM_RSRC2:TIDIG_COMP_CNT: 0
	.section	.text._Z6kernelI23warp_striped_to_blockedN15benchmark_utils11custom_typeIffEELj256ELj2ELj100EEvPKT0_PKjPS4_,"axG",@progbits,_Z6kernelI23warp_striped_to_blockedN15benchmark_utils11custom_typeIffEELj256ELj2ELj100EEvPKT0_PKjPS4_,comdat
	.protected	_Z6kernelI23warp_striped_to_blockedN15benchmark_utils11custom_typeIffEELj256ELj2ELj100EEvPKT0_PKjPS4_ ; -- Begin function _Z6kernelI23warp_striped_to_blockedN15benchmark_utils11custom_typeIffEELj256ELj2ELj100EEvPKT0_PKjPS4_
	.globl	_Z6kernelI23warp_striped_to_blockedN15benchmark_utils11custom_typeIffEELj256ELj2ELj100EEvPKT0_PKjPS4_
	.p2align	8
	.type	_Z6kernelI23warp_striped_to_blockedN15benchmark_utils11custom_typeIffEELj256ELj2ELj100EEvPKT0_PKjPS4_,@function
_Z6kernelI23warp_striped_to_blockedN15benchmark_utils11custom_typeIffEELj256ELj2ELj100EEvPKT0_PKjPS4_: ; @_Z6kernelI23warp_striped_to_blockedN15benchmark_utils11custom_typeIffEELj256ELj2ELj100EEvPKT0_PKjPS4_
; %bb.0:
	s_load_b64 s[4:5], s[0:1], 0x0
	v_lshlrev_b32_e32 v5, 1, v0
	v_mbcnt_lo_u32_b32 v6, -1, 0
	s_mov_b32 s3, 0
	s_lshl_b32 s2, s15, 9
	s_delay_alu instid0(VALU_DEP_2) | instskip(NEXT) | instid1(VALU_DEP_2)
	v_and_b32_e32 v7, 0x1c0, v5
	v_lshlrev_b32_e32 v1, 3, v6
	s_lshl_b64 s[2:3], s[2:3], 3
	v_and_or_b32 v0, 0xe0, v0, v6
	s_delay_alu instid0(VALU_DEP_3) | instskip(SKIP_4) | instid1(VALU_DEP_4)
	v_lshlrev_b32_e32 v2, 3, v7
	v_or_b32_e32 v8, v6, v7
	v_or_b32_e32 v9, 32, v7
	v_lshrrev_b32_e32 v6, 2, v7
	v_bfe_u32 v10, v0, 4, 27
	v_lshlrev_b32_e32 v7, 3, v8
	s_delay_alu instid0(VALU_DEP_4)
	v_lshrrev_b32_e32 v8, 2, v9
	v_lshlrev_b32_e32 v9, 1, v0
	s_waitcnt lgkmcnt(0)
	s_add_u32 s4, s4, s2
	s_addc_u32 s5, s5, s3
	v_add_co_u32 v1, s4, s4, v1
	s_delay_alu instid0(VALU_DEP_1) | instskip(SKIP_1) | instid1(VALU_DEP_3)
	v_add_co_ci_u32_e64 v4, null, s5, 0, s4
	v_add_nc_u32_e32 v0, v6, v7
	v_add_co_u32 v3, vcc_lo, v1, v2
	s_delay_alu instid0(VALU_DEP_3)
	v_add_co_ci_u32_e32 v4, vcc_lo, 0, v4, vcc_lo
	v_add_nc_u32_e32 v6, v8, v7
	v_add_lshl_u32 v7, v10, v9, 3
	s_movk_i32 s4, 0x64
	s_clause 0x1
	global_load_b64 v[1:2], v[3:4], off
	global_load_b64 v[3:4], v[3:4], off offset:256
.LBB109_1:                              ; =>This Inner Loop Header: Depth=1
	s_waitcnt vmcnt(1)
	ds_store_b64 v0, v[1:2]
	s_waitcnt vmcnt(0)
	ds_store_b64 v6, v[3:4] offset:256
	; wave barrier
	ds_load_2addr_b64 v[1:4], v7 offset1:1
	s_add_i32 s4, s4, -1
	s_waitcnt lgkmcnt(0)
	s_cmp_lg_u32 s4, 0
	s_barrier
	buffer_gl0_inv
	s_cbranch_scc1 .LBB109_1
; %bb.2:
	s_load_b64 s[0:1], s[0:1], 0x10
	v_lshlrev_b32_e32 v0, 3, v5
	s_waitcnt lgkmcnt(0)
	s_add_u32 s0, s0, s2
	s_addc_u32 s1, s1, s3
	global_store_b128 v0, v[1:4], s[0:1]
	s_nop 0
	s_sendmsg sendmsg(MSG_DEALLOC_VGPRS)
	s_endpgm
	.section	.rodata,"a",@progbits
	.p2align	6, 0x0
	.amdhsa_kernel _Z6kernelI23warp_striped_to_blockedN15benchmark_utils11custom_typeIffEELj256ELj2ELj100EEvPKT0_PKjPS4_
		.amdhsa_group_segment_fixed_size 4224
		.amdhsa_private_segment_fixed_size 0
		.amdhsa_kernarg_size 24
		.amdhsa_user_sgpr_count 15
		.amdhsa_user_sgpr_dispatch_ptr 0
		.amdhsa_user_sgpr_queue_ptr 0
		.amdhsa_user_sgpr_kernarg_segment_ptr 1
		.amdhsa_user_sgpr_dispatch_id 0
		.amdhsa_user_sgpr_private_segment_size 0
		.amdhsa_wavefront_size32 1
		.amdhsa_uses_dynamic_stack 0
		.amdhsa_enable_private_segment 0
		.amdhsa_system_sgpr_workgroup_id_x 1
		.amdhsa_system_sgpr_workgroup_id_y 0
		.amdhsa_system_sgpr_workgroup_id_z 0
		.amdhsa_system_sgpr_workgroup_info 0
		.amdhsa_system_vgpr_workitem_id 0
		.amdhsa_next_free_vgpr 11
		.amdhsa_next_free_sgpr 16
		.amdhsa_reserve_vcc 1
		.amdhsa_float_round_mode_32 0
		.amdhsa_float_round_mode_16_64 0
		.amdhsa_float_denorm_mode_32 3
		.amdhsa_float_denorm_mode_16_64 3
		.amdhsa_dx10_clamp 1
		.amdhsa_ieee_mode 1
		.amdhsa_fp16_overflow 0
		.amdhsa_workgroup_processor_mode 1
		.amdhsa_memory_ordered 1
		.amdhsa_forward_progress 0
		.amdhsa_shared_vgpr_count 0
		.amdhsa_exception_fp_ieee_invalid_op 0
		.amdhsa_exception_fp_denorm_src 0
		.amdhsa_exception_fp_ieee_div_zero 0
		.amdhsa_exception_fp_ieee_overflow 0
		.amdhsa_exception_fp_ieee_underflow 0
		.amdhsa_exception_fp_ieee_inexact 0
		.amdhsa_exception_int_div_zero 0
	.end_amdhsa_kernel
	.section	.text._Z6kernelI23warp_striped_to_blockedN15benchmark_utils11custom_typeIffEELj256ELj2ELj100EEvPKT0_PKjPS4_,"axG",@progbits,_Z6kernelI23warp_striped_to_blockedN15benchmark_utils11custom_typeIffEELj256ELj2ELj100EEvPKT0_PKjPS4_,comdat
.Lfunc_end109:
	.size	_Z6kernelI23warp_striped_to_blockedN15benchmark_utils11custom_typeIffEELj256ELj2ELj100EEvPKT0_PKjPS4_, .Lfunc_end109-_Z6kernelI23warp_striped_to_blockedN15benchmark_utils11custom_typeIffEELj256ELj2ELj100EEvPKT0_PKjPS4_
                                        ; -- End function
	.section	.AMDGPU.csdata,"",@progbits
; Kernel info:
; codeLenInByte = 296
; NumSgprs: 18
; NumVgprs: 11
; ScratchSize: 0
; MemoryBound: 0
; FloatMode: 240
; IeeeMode: 1
; LDSByteSize: 4224 bytes/workgroup (compile time only)
; SGPRBlocks: 2
; VGPRBlocks: 1
; NumSGPRsForWavesPerEU: 18
; NumVGPRsForWavesPerEU: 11
; Occupancy: 16
; WaveLimiterHint : 1
; COMPUTE_PGM_RSRC2:SCRATCH_EN: 0
; COMPUTE_PGM_RSRC2:USER_SGPR: 15
; COMPUTE_PGM_RSRC2:TRAP_HANDLER: 0
; COMPUTE_PGM_RSRC2:TGID_X_EN: 1
; COMPUTE_PGM_RSRC2:TGID_Y_EN: 0
; COMPUTE_PGM_RSRC2:TGID_Z_EN: 0
; COMPUTE_PGM_RSRC2:TIDIG_COMP_CNT: 0
	.section	.text._Z6kernelI23warp_striped_to_blockedN15benchmark_utils11custom_typeIffEELj256ELj3ELj100EEvPKT0_PKjPS4_,"axG",@progbits,_Z6kernelI23warp_striped_to_blockedN15benchmark_utils11custom_typeIffEELj256ELj3ELj100EEvPKT0_PKjPS4_,comdat
	.protected	_Z6kernelI23warp_striped_to_blockedN15benchmark_utils11custom_typeIffEELj256ELj3ELj100EEvPKT0_PKjPS4_ ; -- Begin function _Z6kernelI23warp_striped_to_blockedN15benchmark_utils11custom_typeIffEELj256ELj3ELj100EEvPKT0_PKjPS4_
	.globl	_Z6kernelI23warp_striped_to_blockedN15benchmark_utils11custom_typeIffEELj256ELj3ELj100EEvPKT0_PKjPS4_
	.p2align	8
	.type	_Z6kernelI23warp_striped_to_blockedN15benchmark_utils11custom_typeIffEELj256ELj3ELj100EEvPKT0_PKjPS4_,@function
_Z6kernelI23warp_striped_to_blockedN15benchmark_utils11custom_typeIffEELj256ELj3ELj100EEvPKT0_PKjPS4_: ; @_Z6kernelI23warp_striped_to_blockedN15benchmark_utils11custom_typeIffEELj256ELj3ELj100EEvPKT0_PKjPS4_
; %bb.0:
	s_load_b64 s[4:5], s[0:1], 0x0
	v_and_b32_e32 v1, 0xe0, v0
	v_mbcnt_lo_u32_b32 v7, -1, 0
	s_mov_b32 s3, 0
	s_mul_i32 s2, s15, 0x300
	v_lshrrev_b32_e32 v9, 5, v0
	v_mul_u32_u24_e32 v1, 3, v1
	v_lshlrev_b32_e32 v8, 3, v7
	s_lshl_b64 s[2:3], s[2:3], 3
	v_mul_u32_u24_e32 v10, 3, v7
	v_mul_u32_u24_e32 v9, 0x60, v9
	v_lshlrev_b32_e32 v1, 3, v1
	s_delay_alu instid0(VALU_DEP_2) | instskip(SKIP_4) | instid1(VALU_DEP_1)
	v_lshl_or_b32 v7, v9, 3, v8
	s_waitcnt lgkmcnt(0)
	s_add_u32 s4, s4, s2
	s_addc_u32 s5, s5, s3
	v_add_co_u32 v2, s4, s4, v8
	v_add_co_ci_u32_e64 v3, null, s5, 0, s4
	v_add_lshl_u32 v8, v10, v9, 3
	s_delay_alu instid0(VALU_DEP_3) | instskip(NEXT) | instid1(VALU_DEP_3)
	v_add_co_u32 v5, vcc_lo, v2, v1
	v_add_co_ci_u32_e32 v6, vcc_lo, 0, v3, vcc_lo
	s_movk_i32 s4, 0x64
	s_clause 0x2
	global_load_b64 v[1:2], v[5:6], off
	global_load_b64 v[3:4], v[5:6], off offset:256
	global_load_b64 v[5:6], v[5:6], off offset:512
.LBB110_1:                              ; =>This Inner Loop Header: Depth=1
	s_waitcnt vmcnt(1)
	ds_store_2addr_b64 v7, v[1:2], v[3:4] offset1:32
	s_waitcnt vmcnt(0)
	ds_store_b64 v7, v[5:6] offset:512
	; wave barrier
	ds_load_2addr_b64 v[1:4], v8 offset1:1
	ds_load_b64 v[5:6], v8 offset:16
	s_add_i32 s4, s4, -1
	s_waitcnt lgkmcnt(0)
	s_cmp_lg_u32 s4, 0
	s_barrier
	buffer_gl0_inv
	s_cbranch_scc1 .LBB110_1
; %bb.2:
	s_load_b64 s[0:1], s[0:1], 0x10
	v_mul_u32_u24_e32 v0, 3, v0
	s_delay_alu instid0(VALU_DEP_1)
	v_lshlrev_b32_e32 v0, 3, v0
	s_waitcnt lgkmcnt(0)
	s_add_u32 s0, s0, s2
	s_addc_u32 s1, s1, s3
	s_clause 0x1
	global_store_b128 v0, v[1:4], s[0:1]
	global_store_b64 v0, v[5:6], s[0:1] offset:16
	s_nop 0
	s_sendmsg sendmsg(MSG_DEALLOC_VGPRS)
	s_endpgm
	.section	.rodata,"a",@progbits
	.p2align	6, 0x0
	.amdhsa_kernel _Z6kernelI23warp_striped_to_blockedN15benchmark_utils11custom_typeIffEELj256ELj3ELj100EEvPKT0_PKjPS4_
		.amdhsa_group_segment_fixed_size 6144
		.amdhsa_private_segment_fixed_size 0
		.amdhsa_kernarg_size 24
		.amdhsa_user_sgpr_count 15
		.amdhsa_user_sgpr_dispatch_ptr 0
		.amdhsa_user_sgpr_queue_ptr 0
		.amdhsa_user_sgpr_kernarg_segment_ptr 1
		.amdhsa_user_sgpr_dispatch_id 0
		.amdhsa_user_sgpr_private_segment_size 0
		.amdhsa_wavefront_size32 1
		.amdhsa_uses_dynamic_stack 0
		.amdhsa_enable_private_segment 0
		.amdhsa_system_sgpr_workgroup_id_x 1
		.amdhsa_system_sgpr_workgroup_id_y 0
		.amdhsa_system_sgpr_workgroup_id_z 0
		.amdhsa_system_sgpr_workgroup_info 0
		.amdhsa_system_vgpr_workitem_id 0
		.amdhsa_next_free_vgpr 11
		.amdhsa_next_free_sgpr 16
		.amdhsa_reserve_vcc 1
		.amdhsa_float_round_mode_32 0
		.amdhsa_float_round_mode_16_64 0
		.amdhsa_float_denorm_mode_32 3
		.amdhsa_float_denorm_mode_16_64 3
		.amdhsa_dx10_clamp 1
		.amdhsa_ieee_mode 1
		.amdhsa_fp16_overflow 0
		.amdhsa_workgroup_processor_mode 1
		.amdhsa_memory_ordered 1
		.amdhsa_forward_progress 0
		.amdhsa_shared_vgpr_count 0
		.amdhsa_exception_fp_ieee_invalid_op 0
		.amdhsa_exception_fp_denorm_src 0
		.amdhsa_exception_fp_ieee_div_zero 0
		.amdhsa_exception_fp_ieee_overflow 0
		.amdhsa_exception_fp_ieee_underflow 0
		.amdhsa_exception_fp_ieee_inexact 0
		.amdhsa_exception_int_div_zero 0
	.end_amdhsa_kernel
	.section	.text._Z6kernelI23warp_striped_to_blockedN15benchmark_utils11custom_typeIffEELj256ELj3ELj100EEvPKT0_PKjPS4_,"axG",@progbits,_Z6kernelI23warp_striped_to_blockedN15benchmark_utils11custom_typeIffEELj256ELj3ELj100EEvPKT0_PKjPS4_,comdat
.Lfunc_end110:
	.size	_Z6kernelI23warp_striped_to_blockedN15benchmark_utils11custom_typeIffEELj256ELj3ELj100EEvPKT0_PKjPS4_, .Lfunc_end110-_Z6kernelI23warp_striped_to_blockedN15benchmark_utils11custom_typeIffEELj256ELj3ELj100EEvPKT0_PKjPS4_
                                        ; -- End function
	.section	.AMDGPU.csdata,"",@progbits
; Kernel info:
; codeLenInByte = 296
; NumSgprs: 18
; NumVgprs: 11
; ScratchSize: 0
; MemoryBound: 0
; FloatMode: 240
; IeeeMode: 1
; LDSByteSize: 6144 bytes/workgroup (compile time only)
; SGPRBlocks: 2
; VGPRBlocks: 1
; NumSGPRsForWavesPerEU: 18
; NumVGPRsForWavesPerEU: 11
; Occupancy: 16
; WaveLimiterHint : 1
; COMPUTE_PGM_RSRC2:SCRATCH_EN: 0
; COMPUTE_PGM_RSRC2:USER_SGPR: 15
; COMPUTE_PGM_RSRC2:TRAP_HANDLER: 0
; COMPUTE_PGM_RSRC2:TGID_X_EN: 1
; COMPUTE_PGM_RSRC2:TGID_Y_EN: 0
; COMPUTE_PGM_RSRC2:TGID_Z_EN: 0
; COMPUTE_PGM_RSRC2:TIDIG_COMP_CNT: 0
	.section	.text._Z6kernelI23warp_striped_to_blockedN15benchmark_utils11custom_typeIffEELj256ELj4ELj100EEvPKT0_PKjPS4_,"axG",@progbits,_Z6kernelI23warp_striped_to_blockedN15benchmark_utils11custom_typeIffEELj256ELj4ELj100EEvPKT0_PKjPS4_,comdat
	.protected	_Z6kernelI23warp_striped_to_blockedN15benchmark_utils11custom_typeIffEELj256ELj4ELj100EEvPKT0_PKjPS4_ ; -- Begin function _Z6kernelI23warp_striped_to_blockedN15benchmark_utils11custom_typeIffEELj256ELj4ELj100EEvPKT0_PKjPS4_
	.globl	_Z6kernelI23warp_striped_to_blockedN15benchmark_utils11custom_typeIffEELj256ELj4ELj100EEvPKT0_PKjPS4_
	.p2align	8
	.type	_Z6kernelI23warp_striped_to_blockedN15benchmark_utils11custom_typeIffEELj256ELj4ELj100EEvPKT0_PKjPS4_,@function
_Z6kernelI23warp_striped_to_blockedN15benchmark_utils11custom_typeIffEELj256ELj4ELj100EEvPKT0_PKjPS4_: ; @_Z6kernelI23warp_striped_to_blockedN15benchmark_utils11custom_typeIffEELj256ELj4ELj100EEvPKT0_PKjPS4_
; %bb.0:
	s_load_b64 s[4:5], s[0:1], 0x0
	v_lshlrev_b32_e32 v9, 2, v0
	v_mbcnt_lo_u32_b32 v10, -1, 0
	s_mov_b32 s3, 0
	s_lshl_b32 s2, s15, 10
	s_delay_alu instid0(VALU_DEP_2) | instskip(NEXT) | instid1(VALU_DEP_2)
	v_and_b32_e32 v11, 0x380, v9
	v_lshlrev_b32_e32 v1, 3, v10
	s_lshl_b64 s[2:3], s[2:3], 3
	v_and_or_b32 v0, 0xe0, v0, v10
	s_delay_alu instid0(VALU_DEP_3)
	v_lshlrev_b32_e32 v2, 3, v11
	v_or_b32_e32 v12, v10, v11
	v_lshrrev_b32_e32 v13, 2, v11
	v_or_b32_e32 v14, 32, v11
	v_or_b32_e32 v15, 64, v11
	;; [unrolled: 1-line block ×3, first 2 shown]
	v_lshlrev_b32_e32 v12, 3, v12
	v_lshlrev_b32_e32 v16, 2, v0
	v_lshrrev_b32_e32 v10, 2, v14
	s_waitcnt lgkmcnt(0)
	s_add_u32 s4, s4, s2
	s_addc_u32 s5, s5, s3
	v_add_co_u32 v1, s4, s4, v1
	s_delay_alu instid0(VALU_DEP_1) | instskip(SKIP_1) | instid1(VALU_DEP_3)
	v_add_co_ci_u32_e64 v4, null, s5, 0, s4
	v_lshrrev_b32_e32 v14, 2, v15
	v_add_co_u32 v3, vcc_lo, v1, v2
	s_delay_alu instid0(VALU_DEP_3)
	v_add_co_ci_u32_e32 v4, vcc_lo, 0, v4, vcc_lo
	v_lshrrev_b32_e32 v15, 2, v11
	v_bfe_u32 v17, v0, 3, 27
	v_add_nc_u32_e32 v0, v13, v12
	s_clause 0x3
	global_load_b64 v[5:6], v[3:4], off
	global_load_b64 v[7:8], v[3:4], off offset:256
	global_load_b64 v[1:2], v[3:4], off offset:512
	global_load_b64 v[3:4], v[3:4], off offset:768
	v_add_nc_u32_e32 v10, v10, v12
	v_add_nc_u32_e32 v11, v14, v12
	;; [unrolled: 1-line block ×3, first 2 shown]
	v_add_lshl_u32 v13, v17, v16, 3
	s_movk_i32 s4, 0x64
.LBB111_1:                              ; =>This Inner Loop Header: Depth=1
	s_waitcnt vmcnt(3)
	ds_store_b64 v0, v[5:6]
	s_waitcnt vmcnt(2)
	ds_store_b64 v10, v[7:8] offset:256
	s_waitcnt vmcnt(1)
	ds_store_b64 v11, v[1:2] offset:512
	;; [unrolled: 2-line block ×3, first 2 shown]
	; wave barrier
	ds_load_2addr_b64 v[5:8], v13 offset1:1
	ds_load_2addr_b64 v[1:4], v13 offset0:2 offset1:3
	s_add_i32 s4, s4, -1
	s_waitcnt lgkmcnt(0)
	s_cmp_lg_u32 s4, 0
	s_barrier
	buffer_gl0_inv
	s_cbranch_scc1 .LBB111_1
; %bb.2:
	s_load_b64 s[0:1], s[0:1], 0x10
	v_lshlrev_b32_e32 v0, 3, v9
	s_waitcnt lgkmcnt(0)
	s_add_u32 s0, s0, s2
	s_addc_u32 s1, s1, s3
	s_clause 0x1
	global_store_b128 v0, v[5:8], s[0:1]
	global_store_b128 v0, v[1:4], s[0:1] offset:16
	s_nop 0
	s_sendmsg sendmsg(MSG_DEALLOC_VGPRS)
	s_endpgm
	.section	.rodata,"a",@progbits
	.p2align	6, 0x0
	.amdhsa_kernel _Z6kernelI23warp_striped_to_blockedN15benchmark_utils11custom_typeIffEELj256ELj4ELj100EEvPKT0_PKjPS4_
		.amdhsa_group_segment_fixed_size 8448
		.amdhsa_private_segment_fixed_size 0
		.amdhsa_kernarg_size 24
		.amdhsa_user_sgpr_count 15
		.amdhsa_user_sgpr_dispatch_ptr 0
		.amdhsa_user_sgpr_queue_ptr 0
		.amdhsa_user_sgpr_kernarg_segment_ptr 1
		.amdhsa_user_sgpr_dispatch_id 0
		.amdhsa_user_sgpr_private_segment_size 0
		.amdhsa_wavefront_size32 1
		.amdhsa_uses_dynamic_stack 0
		.amdhsa_enable_private_segment 0
		.amdhsa_system_sgpr_workgroup_id_x 1
		.amdhsa_system_sgpr_workgroup_id_y 0
		.amdhsa_system_sgpr_workgroup_id_z 0
		.amdhsa_system_sgpr_workgroup_info 0
		.amdhsa_system_vgpr_workitem_id 0
		.amdhsa_next_free_vgpr 18
		.amdhsa_next_free_sgpr 16
		.amdhsa_reserve_vcc 1
		.amdhsa_float_round_mode_32 0
		.amdhsa_float_round_mode_16_64 0
		.amdhsa_float_denorm_mode_32 3
		.amdhsa_float_denorm_mode_16_64 3
		.amdhsa_dx10_clamp 1
		.amdhsa_ieee_mode 1
		.amdhsa_fp16_overflow 0
		.amdhsa_workgroup_processor_mode 1
		.amdhsa_memory_ordered 1
		.amdhsa_forward_progress 0
		.amdhsa_shared_vgpr_count 0
		.amdhsa_exception_fp_ieee_invalid_op 0
		.amdhsa_exception_fp_denorm_src 0
		.amdhsa_exception_fp_ieee_div_zero 0
		.amdhsa_exception_fp_ieee_overflow 0
		.amdhsa_exception_fp_ieee_underflow 0
		.amdhsa_exception_fp_ieee_inexact 0
		.amdhsa_exception_int_div_zero 0
	.end_amdhsa_kernel
	.section	.text._Z6kernelI23warp_striped_to_blockedN15benchmark_utils11custom_typeIffEELj256ELj4ELj100EEvPKT0_PKjPS4_,"axG",@progbits,_Z6kernelI23warp_striped_to_blockedN15benchmark_utils11custom_typeIffEELj256ELj4ELj100EEvPKT0_PKjPS4_,comdat
.Lfunc_end111:
	.size	_Z6kernelI23warp_striped_to_blockedN15benchmark_utils11custom_typeIffEELj256ELj4ELj100EEvPKT0_PKjPS4_, .Lfunc_end111-_Z6kernelI23warp_striped_to_blockedN15benchmark_utils11custom_typeIffEELj256ELj4ELj100EEvPKT0_PKjPS4_
                                        ; -- End function
	.section	.AMDGPU.csdata,"",@progbits
; Kernel info:
; codeLenInByte = 380
; NumSgprs: 18
; NumVgprs: 18
; ScratchSize: 0
; MemoryBound: 0
; FloatMode: 240
; IeeeMode: 1
; LDSByteSize: 8448 bytes/workgroup (compile time only)
; SGPRBlocks: 2
; VGPRBlocks: 2
; NumSGPRsForWavesPerEU: 18
; NumVGPRsForWavesPerEU: 18
; Occupancy: 16
; WaveLimiterHint : 1
; COMPUTE_PGM_RSRC2:SCRATCH_EN: 0
; COMPUTE_PGM_RSRC2:USER_SGPR: 15
; COMPUTE_PGM_RSRC2:TRAP_HANDLER: 0
; COMPUTE_PGM_RSRC2:TGID_X_EN: 1
; COMPUTE_PGM_RSRC2:TGID_Y_EN: 0
; COMPUTE_PGM_RSRC2:TGID_Z_EN: 0
; COMPUTE_PGM_RSRC2:TIDIG_COMP_CNT: 0
	.section	.text._Z6kernelI23warp_striped_to_blockedN15benchmark_utils11custom_typeIffEELj256ELj7ELj100EEvPKT0_PKjPS4_,"axG",@progbits,_Z6kernelI23warp_striped_to_blockedN15benchmark_utils11custom_typeIffEELj256ELj7ELj100EEvPKT0_PKjPS4_,comdat
	.protected	_Z6kernelI23warp_striped_to_blockedN15benchmark_utils11custom_typeIffEELj256ELj7ELj100EEvPKT0_PKjPS4_ ; -- Begin function _Z6kernelI23warp_striped_to_blockedN15benchmark_utils11custom_typeIffEELj256ELj7ELj100EEvPKT0_PKjPS4_
	.globl	_Z6kernelI23warp_striped_to_blockedN15benchmark_utils11custom_typeIffEELj256ELj7ELj100EEvPKT0_PKjPS4_
	.p2align	8
	.type	_Z6kernelI23warp_striped_to_blockedN15benchmark_utils11custom_typeIffEELj256ELj7ELj100EEvPKT0_PKjPS4_,@function
_Z6kernelI23warp_striped_to_blockedN15benchmark_utils11custom_typeIffEELj256ELj7ELj100EEvPKT0_PKjPS4_: ; @_Z6kernelI23warp_striped_to_blockedN15benchmark_utils11custom_typeIffEELj256ELj7ELj100EEvPKT0_PKjPS4_
; %bb.0:
	s_load_b64 s[4:5], s[0:1], 0x0
	v_and_b32_e32 v1, 0xe0, v0
	v_mbcnt_lo_u32_b32 v15, -1, 0
	s_mov_b32 s3, 0
	s_mul_i32 s2, s15, 0x700
	v_lshrrev_b32_e32 v17, 5, v0
	v_mul_u32_u24_e32 v1, 7, v1
	v_lshlrev_b32_e32 v16, 3, v15
	s_lshl_b64 s[2:3], s[2:3], 3
	v_mul_u32_u24_e32 v18, 7, v15
	v_mul_u32_u24_e32 v17, 0xe0, v17
	v_lshlrev_b32_e32 v1, 3, v1
	s_delay_alu instid0(VALU_DEP_2) | instskip(SKIP_4) | instid1(VALU_DEP_1)
	v_lshl_or_b32 v15, v17, 3, v16
	s_waitcnt lgkmcnt(0)
	s_add_u32 s4, s4, s2
	s_addc_u32 s5, s5, s3
	v_add_co_u32 v2, s4, s4, v16
	v_add_co_ci_u32_e64 v3, null, s5, 0, s4
	v_add_lshl_u32 v16, v18, v17, 3
	s_delay_alu instid0(VALU_DEP_3) | instskip(NEXT) | instid1(VALU_DEP_3)
	v_add_co_u32 v13, vcc_lo, v2, v1
	v_add_co_ci_u32_e32 v14, vcc_lo, 0, v3, vcc_lo
	s_movk_i32 s4, 0x64
	s_clause 0x6
	global_load_b64 v[1:2], v[13:14], off
	global_load_b64 v[3:4], v[13:14], off offset:256
	global_load_b64 v[5:6], v[13:14], off offset:512
	;; [unrolled: 1-line block ×6, first 2 shown]
	.p2align	6
.LBB112_1:                              ; =>This Inner Loop Header: Depth=1
	s_waitcnt vmcnt(5)
	ds_store_2addr_b64 v15, v[1:2], v[3:4] offset1:32
	s_waitcnt vmcnt(3)
	ds_store_2addr_b64 v15, v[5:6], v[7:8] offset0:64 offset1:96
	s_waitcnt vmcnt(1)
	ds_store_2addr_b64 v15, v[9:10], v[11:12] offset0:128 offset1:160
	s_waitcnt vmcnt(0)
	ds_store_b64 v15, v[13:14] offset:1536
	; wave barrier
	ds_load_2addr_b64 v[1:4], v16 offset1:1
	ds_load_2addr_b64 v[5:8], v16 offset0:2 offset1:3
	ds_load_2addr_b64 v[9:12], v16 offset0:4 offset1:5
	ds_load_b64 v[13:14], v16 offset:48
	s_add_i32 s4, s4, -1
	s_waitcnt lgkmcnt(0)
	s_cmp_lg_u32 s4, 0
	s_barrier
	buffer_gl0_inv
	s_cbranch_scc1 .LBB112_1
; %bb.2:
	s_load_b64 s[0:1], s[0:1], 0x10
	v_mul_u32_u24_e32 v0, 7, v0
	s_delay_alu instid0(VALU_DEP_1)
	v_lshlrev_b32_e32 v0, 3, v0
	s_waitcnt lgkmcnt(0)
	s_add_u32 s0, s0, s2
	s_addc_u32 s1, s1, s3
	s_clause 0x3
	global_store_b128 v0, v[1:4], s[0:1]
	global_store_b128 v0, v[5:8], s[0:1] offset:16
	global_store_b128 v0, v[9:12], s[0:1] offset:32
	global_store_b64 v0, v[13:14], s[0:1] offset:48
	s_nop 0
	s_sendmsg sendmsg(MSG_DEALLOC_VGPRS)
	s_endpgm
	.section	.rodata,"a",@progbits
	.p2align	6, 0x0
	.amdhsa_kernel _Z6kernelI23warp_striped_to_blockedN15benchmark_utils11custom_typeIffEELj256ELj7ELj100EEvPKT0_PKjPS4_
		.amdhsa_group_segment_fixed_size 14336
		.amdhsa_private_segment_fixed_size 0
		.amdhsa_kernarg_size 24
		.amdhsa_user_sgpr_count 15
		.amdhsa_user_sgpr_dispatch_ptr 0
		.amdhsa_user_sgpr_queue_ptr 0
		.amdhsa_user_sgpr_kernarg_segment_ptr 1
		.amdhsa_user_sgpr_dispatch_id 0
		.amdhsa_user_sgpr_private_segment_size 0
		.amdhsa_wavefront_size32 1
		.amdhsa_uses_dynamic_stack 0
		.amdhsa_enable_private_segment 0
		.amdhsa_system_sgpr_workgroup_id_x 1
		.amdhsa_system_sgpr_workgroup_id_y 0
		.amdhsa_system_sgpr_workgroup_id_z 0
		.amdhsa_system_sgpr_workgroup_info 0
		.amdhsa_system_vgpr_workitem_id 0
		.amdhsa_next_free_vgpr 19
		.amdhsa_next_free_sgpr 16
		.amdhsa_reserve_vcc 1
		.amdhsa_float_round_mode_32 0
		.amdhsa_float_round_mode_16_64 0
		.amdhsa_float_denorm_mode_32 3
		.amdhsa_float_denorm_mode_16_64 3
		.amdhsa_dx10_clamp 1
		.amdhsa_ieee_mode 1
		.amdhsa_fp16_overflow 0
		.amdhsa_workgroup_processor_mode 1
		.amdhsa_memory_ordered 1
		.amdhsa_forward_progress 0
		.amdhsa_shared_vgpr_count 0
		.amdhsa_exception_fp_ieee_invalid_op 0
		.amdhsa_exception_fp_denorm_src 0
		.amdhsa_exception_fp_ieee_div_zero 0
		.amdhsa_exception_fp_ieee_overflow 0
		.amdhsa_exception_fp_ieee_underflow 0
		.amdhsa_exception_fp_ieee_inexact 0
		.amdhsa_exception_int_div_zero 0
	.end_amdhsa_kernel
	.section	.text._Z6kernelI23warp_striped_to_blockedN15benchmark_utils11custom_typeIffEELj256ELj7ELj100EEvPKT0_PKjPS4_,"axG",@progbits,_Z6kernelI23warp_striped_to_blockedN15benchmark_utils11custom_typeIffEELj256ELj7ELj100EEvPKT0_PKjPS4_,comdat
.Lfunc_end112:
	.size	_Z6kernelI23warp_striped_to_blockedN15benchmark_utils11custom_typeIffEELj256ELj7ELj100EEvPKT0_PKjPS4_, .Lfunc_end112-_Z6kernelI23warp_striped_to_blockedN15benchmark_utils11custom_typeIffEELj256ELj7ELj100EEvPKT0_PKjPS4_
                                        ; -- End function
	.section	.AMDGPU.csdata,"",@progbits
; Kernel info:
; codeLenInByte = 384
; NumSgprs: 18
; NumVgprs: 19
; ScratchSize: 0
; MemoryBound: 0
; FloatMode: 240
; IeeeMode: 1
; LDSByteSize: 14336 bytes/workgroup (compile time only)
; SGPRBlocks: 2
; VGPRBlocks: 2
; NumSGPRsForWavesPerEU: 18
; NumVGPRsForWavesPerEU: 19
; Occupancy: 16
; WaveLimiterHint : 1
; COMPUTE_PGM_RSRC2:SCRATCH_EN: 0
; COMPUTE_PGM_RSRC2:USER_SGPR: 15
; COMPUTE_PGM_RSRC2:TRAP_HANDLER: 0
; COMPUTE_PGM_RSRC2:TGID_X_EN: 1
; COMPUTE_PGM_RSRC2:TGID_Y_EN: 0
; COMPUTE_PGM_RSRC2:TGID_Z_EN: 0
; COMPUTE_PGM_RSRC2:TIDIG_COMP_CNT: 0
	.section	.text._Z6kernelI23warp_striped_to_blockedN15benchmark_utils11custom_typeIffEELj256ELj8ELj100EEvPKT0_PKjPS4_,"axG",@progbits,_Z6kernelI23warp_striped_to_blockedN15benchmark_utils11custom_typeIffEELj256ELj8ELj100EEvPKT0_PKjPS4_,comdat
	.protected	_Z6kernelI23warp_striped_to_blockedN15benchmark_utils11custom_typeIffEELj256ELj8ELj100EEvPKT0_PKjPS4_ ; -- Begin function _Z6kernelI23warp_striped_to_blockedN15benchmark_utils11custom_typeIffEELj256ELj8ELj100EEvPKT0_PKjPS4_
	.globl	_Z6kernelI23warp_striped_to_blockedN15benchmark_utils11custom_typeIffEELj256ELj8ELj100EEvPKT0_PKjPS4_
	.p2align	8
	.type	_Z6kernelI23warp_striped_to_blockedN15benchmark_utils11custom_typeIffEELj256ELj8ELj100EEvPKT0_PKjPS4_,@function
_Z6kernelI23warp_striped_to_blockedN15benchmark_utils11custom_typeIffEELj256ELj8ELj100EEvPKT0_PKjPS4_: ; @_Z6kernelI23warp_striped_to_blockedN15benchmark_utils11custom_typeIffEELj256ELj8ELj100EEvPKT0_PKjPS4_
; %bb.0:
	s_load_b64 s[4:5], s[0:1], 0x0
	v_lshlrev_b32_e32 v17, 3, v0
	v_mbcnt_lo_u32_b32 v22, -1, 0
	s_mov_b32 s3, 0
	s_lshl_b32 s2, s15, 11
	s_delay_alu instid0(VALU_DEP_2) | instskip(NEXT) | instid1(VALU_DEP_2)
	v_and_b32_e32 v23, 0x700, v17
	v_lshlrev_b32_e32 v1, 3, v22
	s_lshl_b64 s[2:3], s[2:3], 3
	v_and_or_b32 v0, 0xe0, v0, v22
	s_delay_alu instid0(VALU_DEP_3)
	v_lshlrev_b32_e32 v2, 3, v23
	v_or_b32_e32 v18, v22, v23
	v_lshrrev_b32_e32 v24, 2, v23
	v_or_b32_e32 v19, 32, v23
	v_or_b32_e32 v20, 64, v23
	;; [unrolled: 1-line block ×3, first 2 shown]
	v_lshlrev_b32_e32 v25, 3, v18
	v_or_b32_e32 v26, 0xa0, v23
	v_or_b32_e32 v27, 0xc0, v23
	s_waitcnt lgkmcnt(0)
	s_add_u32 s4, s4, s2
	s_addc_u32 s5, s5, s3
	v_add_co_u32 v1, s4, s4, v1
	s_delay_alu instid0(VALU_DEP_1) | instskip(SKIP_1) | instid1(VALU_DEP_3)
	v_add_co_ci_u32_e64 v4, null, s5, 0, s4
	v_add_nc_u32_e32 v18, v24, v25
	v_add_co_u32 v3, vcc_lo, v1, v2
	s_delay_alu instid0(VALU_DEP_3)
	v_add_co_ci_u32_e32 v4, vcc_lo, 0, v4, vcc_lo
	v_or_b32_e32 v24, 0x80, v23
	v_or_b32_e32 v23, 0xe0, v23
	v_lshrrev_b32_e32 v19, 2, v19
	s_clause 0x7
	global_load_b64 v[13:14], v[3:4], off
	global_load_b64 v[15:16], v[3:4], off offset:256
	global_load_b64 v[9:10], v[3:4], off offset:512
	;; [unrolled: 1-line block ×7, first 2 shown]
	v_lshrrev_b32_e32 v20, 2, v20
	v_lshrrev_b32_e32 v21, 2, v21
	;; [unrolled: 1-line block ×6, first 2 shown]
	v_lshlrev_b32_e32 v28, 3, v0
	v_bfe_u32 v29, v0, 2, 27
	v_add_nc_u32_e32 v19, v19, v25
	v_add_nc_u32_e32 v20, v20, v25
	;; [unrolled: 1-line block ×7, first 2 shown]
	v_add_lshl_u32 v25, v29, v28, 3
	s_movk_i32 s4, 0x64
	.p2align	6
.LBB113_1:                              ; =>This Inner Loop Header: Depth=1
	s_waitcnt vmcnt(7)
	ds_store_b64 v18, v[13:14]
	s_waitcnt vmcnt(6)
	ds_store_b64 v19, v[15:16] offset:256
	s_waitcnt vmcnt(5)
	ds_store_b64 v20, v[9:10] offset:512
	;; [unrolled: 2-line block ×7, first 2 shown]
	; wave barrier
	ds_load_2addr_b64 v[13:16], v25 offset1:1
	ds_load_2addr_b64 v[9:12], v25 offset0:2 offset1:3
	ds_load_2addr_b64 v[5:8], v25 offset0:4 offset1:5
	;; [unrolled: 1-line block ×3, first 2 shown]
	s_add_i32 s4, s4, -1
	s_waitcnt lgkmcnt(0)
	s_cmp_lg_u32 s4, 0
	s_barrier
	buffer_gl0_inv
	s_cbranch_scc1 .LBB113_1
; %bb.2:
	s_load_b64 s[0:1], s[0:1], 0x10
	v_lshlrev_b32_e32 v0, 3, v17
	s_waitcnt lgkmcnt(0)
	s_add_u32 s0, s0, s2
	s_addc_u32 s1, s1, s3
	s_clause 0x3
	global_store_b128 v0, v[13:16], s[0:1]
	global_store_b128 v0, v[9:12], s[0:1] offset:16
	global_store_b128 v0, v[5:8], s[0:1] offset:32
	;; [unrolled: 1-line block ×3, first 2 shown]
	s_nop 0
	s_sendmsg sendmsg(MSG_DEALLOC_VGPRS)
	s_endpgm
	.section	.rodata,"a",@progbits
	.p2align	6, 0x0
	.amdhsa_kernel _Z6kernelI23warp_striped_to_blockedN15benchmark_utils11custom_typeIffEELj256ELj8ELj100EEvPKT0_PKjPS4_
		.amdhsa_group_segment_fixed_size 16896
		.amdhsa_private_segment_fixed_size 0
		.amdhsa_kernarg_size 24
		.amdhsa_user_sgpr_count 15
		.amdhsa_user_sgpr_dispatch_ptr 0
		.amdhsa_user_sgpr_queue_ptr 0
		.amdhsa_user_sgpr_kernarg_segment_ptr 1
		.amdhsa_user_sgpr_dispatch_id 0
		.amdhsa_user_sgpr_private_segment_size 0
		.amdhsa_wavefront_size32 1
		.amdhsa_uses_dynamic_stack 0
		.amdhsa_enable_private_segment 0
		.amdhsa_system_sgpr_workgroup_id_x 1
		.amdhsa_system_sgpr_workgroup_id_y 0
		.amdhsa_system_sgpr_workgroup_id_z 0
		.amdhsa_system_sgpr_workgroup_info 0
		.amdhsa_system_vgpr_workitem_id 0
		.amdhsa_next_free_vgpr 30
		.amdhsa_next_free_sgpr 16
		.amdhsa_reserve_vcc 1
		.amdhsa_float_round_mode_32 0
		.amdhsa_float_round_mode_16_64 0
		.amdhsa_float_denorm_mode_32 3
		.amdhsa_float_denorm_mode_16_64 3
		.amdhsa_dx10_clamp 1
		.amdhsa_ieee_mode 1
		.amdhsa_fp16_overflow 0
		.amdhsa_workgroup_processor_mode 1
		.amdhsa_memory_ordered 1
		.amdhsa_forward_progress 0
		.amdhsa_shared_vgpr_count 0
		.amdhsa_exception_fp_ieee_invalid_op 0
		.amdhsa_exception_fp_denorm_src 0
		.amdhsa_exception_fp_ieee_div_zero 0
		.amdhsa_exception_fp_ieee_overflow 0
		.amdhsa_exception_fp_ieee_underflow 0
		.amdhsa_exception_fp_ieee_inexact 0
		.amdhsa_exception_int_div_zero 0
	.end_amdhsa_kernel
	.section	.text._Z6kernelI23warp_striped_to_blockedN15benchmark_utils11custom_typeIffEELj256ELj8ELj100EEvPKT0_PKjPS4_,"axG",@progbits,_Z6kernelI23warp_striped_to_blockedN15benchmark_utils11custom_typeIffEELj256ELj8ELj100EEvPKT0_PKjPS4_,comdat
.Lfunc_end113:
	.size	_Z6kernelI23warp_striped_to_blockedN15benchmark_utils11custom_typeIffEELj256ELj8ELj100EEvPKT0_PKjPS4_, .Lfunc_end113-_Z6kernelI23warp_striped_to_blockedN15benchmark_utils11custom_typeIffEELj256ELj8ELj100EEvPKT0_PKjPS4_
                                        ; -- End function
	.section	.AMDGPU.csdata,"",@progbits
; Kernel info:
; codeLenInByte = 556
; NumSgprs: 18
; NumVgprs: 30
; ScratchSize: 0
; MemoryBound: 0
; FloatMode: 240
; IeeeMode: 1
; LDSByteSize: 16896 bytes/workgroup (compile time only)
; SGPRBlocks: 2
; VGPRBlocks: 3
; NumSGPRsForWavesPerEU: 18
; NumVGPRsForWavesPerEU: 30
; Occupancy: 14
; WaveLimiterHint : 1
; COMPUTE_PGM_RSRC2:SCRATCH_EN: 0
; COMPUTE_PGM_RSRC2:USER_SGPR: 15
; COMPUTE_PGM_RSRC2:TRAP_HANDLER: 0
; COMPUTE_PGM_RSRC2:TGID_X_EN: 1
; COMPUTE_PGM_RSRC2:TGID_Y_EN: 0
; COMPUTE_PGM_RSRC2:TGID_Z_EN: 0
; COMPUTE_PGM_RSRC2:TIDIG_COMP_CNT: 0
	.section	.text._Z6kernelI23warp_striped_to_blockedN15benchmark_utils11custom_typeIddEELj256ELj1ELj100EEvPKT0_PKjPS4_,"axG",@progbits,_Z6kernelI23warp_striped_to_blockedN15benchmark_utils11custom_typeIddEELj256ELj1ELj100EEvPKT0_PKjPS4_,comdat
	.protected	_Z6kernelI23warp_striped_to_blockedN15benchmark_utils11custom_typeIddEELj256ELj1ELj100EEvPKT0_PKjPS4_ ; -- Begin function _Z6kernelI23warp_striped_to_blockedN15benchmark_utils11custom_typeIddEELj256ELj1ELj100EEvPKT0_PKjPS4_
	.globl	_Z6kernelI23warp_striped_to_blockedN15benchmark_utils11custom_typeIddEELj256ELj1ELj100EEvPKT0_PKjPS4_
	.p2align	8
	.type	_Z6kernelI23warp_striped_to_blockedN15benchmark_utils11custom_typeIddEELj256ELj1ELj100EEvPKT0_PKjPS4_,@function
_Z6kernelI23warp_striped_to_blockedN15benchmark_utils11custom_typeIddEELj256ELj1ELj100EEvPKT0_PKjPS4_: ; @_Z6kernelI23warp_striped_to_blockedN15benchmark_utils11custom_typeIddEELj256ELj1ELj100EEvPKT0_PKjPS4_
; %bb.0:
	s_load_b64 s[4:5], s[0:1], 0x0
	v_mbcnt_lo_u32_b32 v1, -1, 0
	s_mov_b32 s3, 0
	s_lshl_b32 s2, s15, 8
	v_and_b32_e32 v2, 0xe0, v0
	s_lshl_b64 s[2:3], s[2:3], 4
	v_lshlrev_b32_e32 v5, 4, v1
	s_delay_alu instid0(VALU_DEP_2) | instskip(SKIP_4) | instid1(VALU_DEP_1)
	v_lshlrev_b32_e32 v6, 4, v2
	s_waitcnt lgkmcnt(0)
	s_add_u32 s4, s4, s2
	s_addc_u32 s5, s5, s3
	v_add_co_u32 v1, s4, s4, v5
	v_add_co_ci_u32_e64 v2, null, s5, 0, s4
	v_or_b32_e32 v5, v5, v6
	s_delay_alu instid0(VALU_DEP_3) | instskip(NEXT) | instid1(VALU_DEP_3)
	v_add_co_u32 v1, vcc_lo, v1, v6
	v_add_co_ci_u32_e32 v2, vcc_lo, 0, v2, vcc_lo
	s_movk_i32 s4, 0x64
	global_load_b128 v[1:4], v[1:2], off
.LBB114_1:                              ; =>This Inner Loop Header: Depth=1
	s_waitcnt vmcnt(0)
	ds_store_b128 v5, v[1:4]
	; wave barrier
	ds_load_b128 v[1:4], v5
	s_add_i32 s4, s4, -1
	s_waitcnt lgkmcnt(0)
	s_cmp_lg_u32 s4, 0
	s_barrier
	buffer_gl0_inv
	s_cbranch_scc1 .LBB114_1
; %bb.2:
	s_load_b64 s[0:1], s[0:1], 0x10
	v_lshlrev_b32_e32 v0, 4, v0
	s_waitcnt lgkmcnt(0)
	s_add_u32 s0, s0, s2
	s_addc_u32 s1, s1, s3
	global_store_b128 v0, v[1:4], s[0:1]
	s_nop 0
	s_sendmsg sendmsg(MSG_DEALLOC_VGPRS)
	s_endpgm
	.section	.rodata,"a",@progbits
	.p2align	6, 0x0
	.amdhsa_kernel _Z6kernelI23warp_striped_to_blockedN15benchmark_utils11custom_typeIddEELj256ELj1ELj100EEvPKT0_PKjPS4_
		.amdhsa_group_segment_fixed_size 4096
		.amdhsa_private_segment_fixed_size 0
		.amdhsa_kernarg_size 24
		.amdhsa_user_sgpr_count 15
		.amdhsa_user_sgpr_dispatch_ptr 0
		.amdhsa_user_sgpr_queue_ptr 0
		.amdhsa_user_sgpr_kernarg_segment_ptr 1
		.amdhsa_user_sgpr_dispatch_id 0
		.amdhsa_user_sgpr_private_segment_size 0
		.amdhsa_wavefront_size32 1
		.amdhsa_uses_dynamic_stack 0
		.amdhsa_enable_private_segment 0
		.amdhsa_system_sgpr_workgroup_id_x 1
		.amdhsa_system_sgpr_workgroup_id_y 0
		.amdhsa_system_sgpr_workgroup_id_z 0
		.amdhsa_system_sgpr_workgroup_info 0
		.amdhsa_system_vgpr_workitem_id 0
		.amdhsa_next_free_vgpr 7
		.amdhsa_next_free_sgpr 16
		.amdhsa_reserve_vcc 1
		.amdhsa_float_round_mode_32 0
		.amdhsa_float_round_mode_16_64 0
		.amdhsa_float_denorm_mode_32 3
		.amdhsa_float_denorm_mode_16_64 3
		.amdhsa_dx10_clamp 1
		.amdhsa_ieee_mode 1
		.amdhsa_fp16_overflow 0
		.amdhsa_workgroup_processor_mode 1
		.amdhsa_memory_ordered 1
		.amdhsa_forward_progress 0
		.amdhsa_shared_vgpr_count 0
		.amdhsa_exception_fp_ieee_invalid_op 0
		.amdhsa_exception_fp_denorm_src 0
		.amdhsa_exception_fp_ieee_div_zero 0
		.amdhsa_exception_fp_ieee_overflow 0
		.amdhsa_exception_fp_ieee_underflow 0
		.amdhsa_exception_fp_ieee_inexact 0
		.amdhsa_exception_int_div_zero 0
	.end_amdhsa_kernel
	.section	.text._Z6kernelI23warp_striped_to_blockedN15benchmark_utils11custom_typeIddEELj256ELj1ELj100EEvPKT0_PKjPS4_,"axG",@progbits,_Z6kernelI23warp_striped_to_blockedN15benchmark_utils11custom_typeIddEELj256ELj1ELj100EEvPKT0_PKjPS4_,comdat
.Lfunc_end114:
	.size	_Z6kernelI23warp_striped_to_blockedN15benchmark_utils11custom_typeIddEELj256ELj1ELj100EEvPKT0_PKjPS4_, .Lfunc_end114-_Z6kernelI23warp_striped_to_blockedN15benchmark_utils11custom_typeIddEELj256ELj1ELj100EEvPKT0_PKjPS4_
                                        ; -- End function
	.section	.AMDGPU.csdata,"",@progbits
; Kernel info:
; codeLenInByte = 200
; NumSgprs: 18
; NumVgprs: 7
; ScratchSize: 0
; MemoryBound: 0
; FloatMode: 240
; IeeeMode: 1
; LDSByteSize: 4096 bytes/workgroup (compile time only)
; SGPRBlocks: 2
; VGPRBlocks: 0
; NumSGPRsForWavesPerEU: 18
; NumVGPRsForWavesPerEU: 7
; Occupancy: 16
; WaveLimiterHint : 0
; COMPUTE_PGM_RSRC2:SCRATCH_EN: 0
; COMPUTE_PGM_RSRC2:USER_SGPR: 15
; COMPUTE_PGM_RSRC2:TRAP_HANDLER: 0
; COMPUTE_PGM_RSRC2:TGID_X_EN: 1
; COMPUTE_PGM_RSRC2:TGID_Y_EN: 0
; COMPUTE_PGM_RSRC2:TGID_Z_EN: 0
; COMPUTE_PGM_RSRC2:TIDIG_COMP_CNT: 0
	.section	.text._Z6kernelI23warp_striped_to_blockedN15benchmark_utils11custom_typeIddEELj256ELj2ELj100EEvPKT0_PKjPS4_,"axG",@progbits,_Z6kernelI23warp_striped_to_blockedN15benchmark_utils11custom_typeIddEELj256ELj2ELj100EEvPKT0_PKjPS4_,comdat
	.protected	_Z6kernelI23warp_striped_to_blockedN15benchmark_utils11custom_typeIddEELj256ELj2ELj100EEvPKT0_PKjPS4_ ; -- Begin function _Z6kernelI23warp_striped_to_blockedN15benchmark_utils11custom_typeIddEELj256ELj2ELj100EEvPKT0_PKjPS4_
	.globl	_Z6kernelI23warp_striped_to_blockedN15benchmark_utils11custom_typeIddEELj256ELj2ELj100EEvPKT0_PKjPS4_
	.p2align	8
	.type	_Z6kernelI23warp_striped_to_blockedN15benchmark_utils11custom_typeIddEELj256ELj2ELj100EEvPKT0_PKjPS4_,@function
_Z6kernelI23warp_striped_to_blockedN15benchmark_utils11custom_typeIddEELj256ELj2ELj100EEvPKT0_PKjPS4_: ; @_Z6kernelI23warp_striped_to_blockedN15benchmark_utils11custom_typeIddEELj256ELj2ELj100EEvPKT0_PKjPS4_
; %bb.0:
	s_load_b64 s[4:5], s[0:1], 0x0
	v_lshlrev_b32_e32 v9, 1, v0
	v_mbcnt_lo_u32_b32 v10, -1, 0
	s_mov_b32 s3, 0
	s_lshl_b32 s2, s15, 9
	s_delay_alu instid0(VALU_DEP_2) | instskip(NEXT) | instid1(VALU_DEP_2)
	v_and_b32_e32 v11, 0x1c0, v9
	v_lshlrev_b32_e32 v1, 4, v10
	s_lshl_b64 s[2:3], s[2:3], 4
	v_and_or_b32 v0, 0xe0, v0, v10
	s_delay_alu instid0(VALU_DEP_3) | instskip(SKIP_4) | instid1(VALU_DEP_4)
	v_lshlrev_b32_e32 v2, 4, v11
	v_lshrrev_b16 v12, 1, v11
	v_or_b32_e32 v13, v10, v11
	v_or_b32_e32 v11, 32, v11
	v_bfe_u32 v14, v0, 4, 27
	v_and_b32_e32 v10, 0xffff, v12
	s_delay_alu instid0(VALU_DEP_4) | instskip(NEXT) | instid1(VALU_DEP_4)
	v_lshlrev_b32_e32 v12, 4, v13
	v_lshrrev_b32_e32 v11, 1, v11
	s_waitcnt lgkmcnt(0)
	s_add_u32 s4, s4, s2
	s_addc_u32 s5, s5, s3
	v_add_co_u32 v1, s4, s4, v1
	s_delay_alu instid0(VALU_DEP_1) | instskip(SKIP_1) | instid1(VALU_DEP_3)
	v_add_co_ci_u32_e64 v3, null, s5, 0, s4
	v_lshlrev_b32_e32 v13, 1, v0
	v_add_co_u32 v1, vcc_lo, v1, v2
	s_delay_alu instid0(VALU_DEP_3)
	v_add_co_ci_u32_e32 v2, vcc_lo, 0, v3, vcc_lo
	v_add_nc_u32_e32 v0, v10, v12
	v_add_nc_u32_e32 v10, v11, v12
	v_add_lshl_u32 v11, v14, v13, 4
	s_clause 0x1
	global_load_b128 v[5:8], v[1:2], off
	global_load_b128 v[1:4], v[1:2], off offset:512
	s_movk_i32 s4, 0x64
.LBB115_1:                              ; =>This Inner Loop Header: Depth=1
	s_waitcnt vmcnt(1)
	ds_store_b128 v0, v[5:8]
	s_waitcnt vmcnt(0)
	ds_store_b128 v10, v[1:4] offset:512
	; wave barrier
	ds_load_b128 v[5:8], v11
	ds_load_b128 v[1:4], v11 offset:16
	s_add_i32 s4, s4, -1
	s_waitcnt lgkmcnt(0)
	s_cmp_lg_u32 s4, 0
	s_barrier
	buffer_gl0_inv
	s_cbranch_scc1 .LBB115_1
; %bb.2:
	s_load_b64 s[0:1], s[0:1], 0x10
	v_lshlrev_b32_e32 v0, 4, v9
	s_waitcnt lgkmcnt(0)
	s_add_u32 s0, s0, s2
	s_addc_u32 s1, s1, s3
	s_clause 0x1
	global_store_b128 v0, v[5:8], s[0:1]
	global_store_b128 v0, v[1:4], s[0:1] offset:16
	s_nop 0
	s_sendmsg sendmsg(MSG_DEALLOC_VGPRS)
	s_endpgm
	.section	.rodata,"a",@progbits
	.p2align	6, 0x0
	.amdhsa_kernel _Z6kernelI23warp_striped_to_blockedN15benchmark_utils11custom_typeIddEELj256ELj2ELj100EEvPKT0_PKjPS4_
		.amdhsa_group_segment_fixed_size 8448
		.amdhsa_private_segment_fixed_size 0
		.amdhsa_kernarg_size 24
		.amdhsa_user_sgpr_count 15
		.amdhsa_user_sgpr_dispatch_ptr 0
		.amdhsa_user_sgpr_queue_ptr 0
		.amdhsa_user_sgpr_kernarg_segment_ptr 1
		.amdhsa_user_sgpr_dispatch_id 0
		.amdhsa_user_sgpr_private_segment_size 0
		.amdhsa_wavefront_size32 1
		.amdhsa_uses_dynamic_stack 0
		.amdhsa_enable_private_segment 0
		.amdhsa_system_sgpr_workgroup_id_x 1
		.amdhsa_system_sgpr_workgroup_id_y 0
		.amdhsa_system_sgpr_workgroup_id_z 0
		.amdhsa_system_sgpr_workgroup_info 0
		.amdhsa_system_vgpr_workitem_id 0
		.amdhsa_next_free_vgpr 15
		.amdhsa_next_free_sgpr 16
		.amdhsa_reserve_vcc 1
		.amdhsa_float_round_mode_32 0
		.amdhsa_float_round_mode_16_64 0
		.amdhsa_float_denorm_mode_32 3
		.amdhsa_float_denorm_mode_16_64 3
		.amdhsa_dx10_clamp 1
		.amdhsa_ieee_mode 1
		.amdhsa_fp16_overflow 0
		.amdhsa_workgroup_processor_mode 1
		.amdhsa_memory_ordered 1
		.amdhsa_forward_progress 0
		.amdhsa_shared_vgpr_count 0
		.amdhsa_exception_fp_ieee_invalid_op 0
		.amdhsa_exception_fp_denorm_src 0
		.amdhsa_exception_fp_ieee_div_zero 0
		.amdhsa_exception_fp_ieee_overflow 0
		.amdhsa_exception_fp_ieee_underflow 0
		.amdhsa_exception_fp_ieee_inexact 0
		.amdhsa_exception_int_div_zero 0
	.end_amdhsa_kernel
	.section	.text._Z6kernelI23warp_striped_to_blockedN15benchmark_utils11custom_typeIddEELj256ELj2ELj100EEvPKT0_PKjPS4_,"axG",@progbits,_Z6kernelI23warp_striped_to_blockedN15benchmark_utils11custom_typeIddEELj256ELj2ELj100EEvPKT0_PKjPS4_,comdat
.Lfunc_end115:
	.size	_Z6kernelI23warp_striped_to_blockedN15benchmark_utils11custom_typeIddEELj256ELj2ELj100EEvPKT0_PKjPS4_, .Lfunc_end115-_Z6kernelI23warp_striped_to_blockedN15benchmark_utils11custom_typeIddEELj256ELj2ELj100EEvPKT0_PKjPS4_
                                        ; -- End function
	.section	.AMDGPU.csdata,"",@progbits
; Kernel info:
; codeLenInByte = 328
; NumSgprs: 18
; NumVgprs: 15
; ScratchSize: 0
; MemoryBound: 0
; FloatMode: 240
; IeeeMode: 1
; LDSByteSize: 8448 bytes/workgroup (compile time only)
; SGPRBlocks: 2
; VGPRBlocks: 1
; NumSGPRsForWavesPerEU: 18
; NumVGPRsForWavesPerEU: 15
; Occupancy: 16
; WaveLimiterHint : 1
; COMPUTE_PGM_RSRC2:SCRATCH_EN: 0
; COMPUTE_PGM_RSRC2:USER_SGPR: 15
; COMPUTE_PGM_RSRC2:TRAP_HANDLER: 0
; COMPUTE_PGM_RSRC2:TGID_X_EN: 1
; COMPUTE_PGM_RSRC2:TGID_Y_EN: 0
; COMPUTE_PGM_RSRC2:TGID_Z_EN: 0
; COMPUTE_PGM_RSRC2:TIDIG_COMP_CNT: 0
	.section	.text._Z6kernelI23warp_striped_to_blockedN15benchmark_utils11custom_typeIddEELj256ELj3ELj100EEvPKT0_PKjPS4_,"axG",@progbits,_Z6kernelI23warp_striped_to_blockedN15benchmark_utils11custom_typeIddEELj256ELj3ELj100EEvPKT0_PKjPS4_,comdat
	.protected	_Z6kernelI23warp_striped_to_blockedN15benchmark_utils11custom_typeIddEELj256ELj3ELj100EEvPKT0_PKjPS4_ ; -- Begin function _Z6kernelI23warp_striped_to_blockedN15benchmark_utils11custom_typeIddEELj256ELj3ELj100EEvPKT0_PKjPS4_
	.globl	_Z6kernelI23warp_striped_to_blockedN15benchmark_utils11custom_typeIddEELj256ELj3ELj100EEvPKT0_PKjPS4_
	.p2align	8
	.type	_Z6kernelI23warp_striped_to_blockedN15benchmark_utils11custom_typeIddEELj256ELj3ELj100EEvPKT0_PKjPS4_,@function
_Z6kernelI23warp_striped_to_blockedN15benchmark_utils11custom_typeIddEELj256ELj3ELj100EEvPKT0_PKjPS4_: ; @_Z6kernelI23warp_striped_to_blockedN15benchmark_utils11custom_typeIddEELj256ELj3ELj100EEvPKT0_PKjPS4_
; %bb.0:
	s_load_b64 s[4:5], s[0:1], 0x0
	v_and_b32_e32 v1, 0xe0, v0
	v_mbcnt_lo_u32_b32 v13, -1, 0
	s_mov_b32 s3, 0
	s_mul_i32 s2, s15, 0x300
	v_lshrrev_b32_e32 v15, 5, v0
	v_mul_u32_u24_e32 v1, 3, v1
	v_lshlrev_b32_e32 v14, 4, v13
	s_lshl_b64 s[2:3], s[2:3], 4
	v_mul_u32_u24_e32 v16, 3, v13
	v_mul_u32_u24_e32 v15, 0x60, v15
	v_lshlrev_b32_e32 v1, 4, v1
	s_delay_alu instid0(VALU_DEP_2) | instskip(SKIP_4) | instid1(VALU_DEP_1)
	v_lshl_or_b32 v13, v15, 4, v14
	s_waitcnt lgkmcnt(0)
	s_add_u32 s4, s4, s2
	s_addc_u32 s5, s5, s3
	v_add_co_u32 v2, s4, s4, v14
	v_add_co_ci_u32_e64 v3, null, s5, 0, s4
	v_add_lshl_u32 v14, v16, v15, 4
	s_delay_alu instid0(VALU_DEP_3) | instskip(NEXT) | instid1(VALU_DEP_3)
	v_add_co_u32 v1, vcc_lo, v2, v1
	v_add_co_ci_u32_e32 v2, vcc_lo, 0, v3, vcc_lo
	s_movk_i32 s4, 0x64
	s_clause 0x2
	global_load_b128 v[9:12], v[1:2], off
	global_load_b128 v[5:8], v[1:2], off offset:512
	global_load_b128 v[1:4], v[1:2], off offset:1024
.LBB116_1:                              ; =>This Inner Loop Header: Depth=1
	s_waitcnt vmcnt(2)
	ds_store_b128 v13, v[9:12]
	s_waitcnt vmcnt(1)
	ds_store_b128 v13, v[5:8] offset:512
	s_waitcnt vmcnt(0)
	ds_store_b128 v13, v[1:4] offset:1024
	; wave barrier
	ds_load_b128 v[9:12], v14
	ds_load_b128 v[5:8], v14 offset:16
	ds_load_b128 v[1:4], v14 offset:32
	s_add_i32 s4, s4, -1
	s_waitcnt lgkmcnt(0)
	s_cmp_lg_u32 s4, 0
	s_barrier
	buffer_gl0_inv
	s_cbranch_scc1 .LBB116_1
; %bb.2:
	s_load_b64 s[0:1], s[0:1], 0x10
	v_mul_u32_u24_e32 v0, 3, v0
	s_delay_alu instid0(VALU_DEP_1)
	v_lshlrev_b32_e32 v0, 4, v0
	s_waitcnt lgkmcnt(0)
	s_add_u32 s0, s0, s2
	s_addc_u32 s1, s1, s3
	s_clause 0x2
	global_store_b128 v0, v[9:12], s[0:1]
	global_store_b128 v0, v[5:8], s[0:1] offset:16
	global_store_b128 v0, v[1:4], s[0:1] offset:32
	s_nop 0
	s_sendmsg sendmsg(MSG_DEALLOC_VGPRS)
	s_endpgm
	.section	.rodata,"a",@progbits
	.p2align	6, 0x0
	.amdhsa_kernel _Z6kernelI23warp_striped_to_blockedN15benchmark_utils11custom_typeIddEELj256ELj3ELj100EEvPKT0_PKjPS4_
		.amdhsa_group_segment_fixed_size 12288
		.amdhsa_private_segment_fixed_size 0
		.amdhsa_kernarg_size 24
		.amdhsa_user_sgpr_count 15
		.amdhsa_user_sgpr_dispatch_ptr 0
		.amdhsa_user_sgpr_queue_ptr 0
		.amdhsa_user_sgpr_kernarg_segment_ptr 1
		.amdhsa_user_sgpr_dispatch_id 0
		.amdhsa_user_sgpr_private_segment_size 0
		.amdhsa_wavefront_size32 1
		.amdhsa_uses_dynamic_stack 0
		.amdhsa_enable_private_segment 0
		.amdhsa_system_sgpr_workgroup_id_x 1
		.amdhsa_system_sgpr_workgroup_id_y 0
		.amdhsa_system_sgpr_workgroup_id_z 0
		.amdhsa_system_sgpr_workgroup_info 0
		.amdhsa_system_vgpr_workitem_id 0
		.amdhsa_next_free_vgpr 17
		.amdhsa_next_free_sgpr 16
		.amdhsa_reserve_vcc 1
		.amdhsa_float_round_mode_32 0
		.amdhsa_float_round_mode_16_64 0
		.amdhsa_float_denorm_mode_32 3
		.amdhsa_float_denorm_mode_16_64 3
		.amdhsa_dx10_clamp 1
		.amdhsa_ieee_mode 1
		.amdhsa_fp16_overflow 0
		.amdhsa_workgroup_processor_mode 1
		.amdhsa_memory_ordered 1
		.amdhsa_forward_progress 0
		.amdhsa_shared_vgpr_count 0
		.amdhsa_exception_fp_ieee_invalid_op 0
		.amdhsa_exception_fp_denorm_src 0
		.amdhsa_exception_fp_ieee_div_zero 0
		.amdhsa_exception_fp_ieee_overflow 0
		.amdhsa_exception_fp_ieee_underflow 0
		.amdhsa_exception_fp_ieee_inexact 0
		.amdhsa_exception_int_div_zero 0
	.end_amdhsa_kernel
	.section	.text._Z6kernelI23warp_striped_to_blockedN15benchmark_utils11custom_typeIddEELj256ELj3ELj100EEvPKT0_PKjPS4_,"axG",@progbits,_Z6kernelI23warp_striped_to_blockedN15benchmark_utils11custom_typeIddEELj256ELj3ELj100EEvPKT0_PKjPS4_,comdat
.Lfunc_end116:
	.size	_Z6kernelI23warp_striped_to_blockedN15benchmark_utils11custom_typeIddEELj256ELj3ELj100EEvPKT0_PKjPS4_, .Lfunc_end116-_Z6kernelI23warp_striped_to_blockedN15benchmark_utils11custom_typeIddEELj256ELj3ELj100EEvPKT0_PKjPS4_
                                        ; -- End function
	.section	.AMDGPU.csdata,"",@progbits
; Kernel info:
; codeLenInByte = 324
; NumSgprs: 18
; NumVgprs: 17
; ScratchSize: 0
; MemoryBound: 0
; FloatMode: 240
; IeeeMode: 1
; LDSByteSize: 12288 bytes/workgroup (compile time only)
; SGPRBlocks: 2
; VGPRBlocks: 2
; NumSGPRsForWavesPerEU: 18
; NumVGPRsForWavesPerEU: 17
; Occupancy: 16
; WaveLimiterHint : 1
; COMPUTE_PGM_RSRC2:SCRATCH_EN: 0
; COMPUTE_PGM_RSRC2:USER_SGPR: 15
; COMPUTE_PGM_RSRC2:TRAP_HANDLER: 0
; COMPUTE_PGM_RSRC2:TGID_X_EN: 1
; COMPUTE_PGM_RSRC2:TGID_Y_EN: 0
; COMPUTE_PGM_RSRC2:TGID_Z_EN: 0
; COMPUTE_PGM_RSRC2:TIDIG_COMP_CNT: 0
	.section	.text._Z6kernelI23warp_striped_to_blockedN15benchmark_utils11custom_typeIddEELj256ELj4ELj100EEvPKT0_PKjPS4_,"axG",@progbits,_Z6kernelI23warp_striped_to_blockedN15benchmark_utils11custom_typeIddEELj256ELj4ELj100EEvPKT0_PKjPS4_,comdat
	.protected	_Z6kernelI23warp_striped_to_blockedN15benchmark_utils11custom_typeIddEELj256ELj4ELj100EEvPKT0_PKjPS4_ ; -- Begin function _Z6kernelI23warp_striped_to_blockedN15benchmark_utils11custom_typeIddEELj256ELj4ELj100EEvPKT0_PKjPS4_
	.globl	_Z6kernelI23warp_striped_to_blockedN15benchmark_utils11custom_typeIddEELj256ELj4ELj100EEvPKT0_PKjPS4_
	.p2align	8
	.type	_Z6kernelI23warp_striped_to_blockedN15benchmark_utils11custom_typeIddEELj256ELj4ELj100EEvPKT0_PKjPS4_,@function
_Z6kernelI23warp_striped_to_blockedN15benchmark_utils11custom_typeIddEELj256ELj4ELj100EEvPKT0_PKjPS4_: ; @_Z6kernelI23warp_striped_to_blockedN15benchmark_utils11custom_typeIddEELj256ELj4ELj100EEvPKT0_PKjPS4_
; %bb.0:
	s_load_b64 s[4:5], s[0:1], 0x0
	v_lshlrev_b32_e32 v17, 2, v0
	v_mbcnt_lo_u32_b32 v18, -1, 0
	s_mov_b32 s3, 0
	s_lshl_b32 s2, s15, 10
	s_delay_alu instid0(VALU_DEP_2) | instskip(NEXT) | instid1(VALU_DEP_2)
	v_and_b32_e32 v19, 0x380, v17
	v_lshlrev_b32_e32 v1, 4, v18
	s_lshl_b64 s[2:3], s[2:3], 4
	v_and_or_b32 v0, 0xe0, v0, v18
	s_delay_alu instid0(VALU_DEP_3)
	v_lshlrev_b32_e32 v2, 4, v19
	v_lshrrev_b16 v20, 1, v19
	v_or_b32_e32 v21, v18, v19
	v_or_b32_e32 v22, 32, v19
	;; [unrolled: 1-line block ×4, first 2 shown]
	v_and_b32_e32 v20, 0xffff, v20
	v_lshlrev_b32_e32 v21, 4, v21
	v_lshrrev_b32_e32 v18, 1, v22
	s_waitcnt lgkmcnt(0)
	s_add_u32 s4, s4, s2
	s_addc_u32 s5, s5, s3
	v_add_co_u32 v1, s4, s4, v1
	s_delay_alu instid0(VALU_DEP_1) | instskip(SKIP_1) | instid1(VALU_DEP_3)
	v_add_co_ci_u32_e64 v3, null, s5, 0, s4
	v_lshrrev_b32_e32 v22, 1, v23
	v_add_co_u32 v1, vcc_lo, v1, v2
	s_delay_alu instid0(VALU_DEP_3)
	v_add_co_ci_u32_e32 v2, vcc_lo, 0, v3, vcc_lo
	v_lshrrev_b32_e32 v23, 1, v19
	v_lshlrev_b32_e32 v24, 2, v0
	v_bfe_u32 v25, v0, 3, 27
	s_clause 0x3
	global_load_b128 v[13:16], v[1:2], off
	global_load_b128 v[9:12], v[1:2], off offset:512
	global_load_b128 v[5:8], v[1:2], off offset:1024
	;; [unrolled: 1-line block ×3, first 2 shown]
	v_add_nc_u32_e32 v0, v20, v21
	v_add_nc_u32_e32 v18, v18, v21
	;; [unrolled: 1-line block ×4, first 2 shown]
	v_add_lshl_u32 v21, v25, v24, 4
	s_movk_i32 s4, 0x64
	.p2align	6
.LBB117_1:                              ; =>This Inner Loop Header: Depth=1
	s_waitcnt vmcnt(3)
	ds_store_b128 v0, v[13:16]
	s_waitcnt vmcnt(2)
	ds_store_b128 v18, v[9:12] offset:512
	s_waitcnt vmcnt(1)
	ds_store_b128 v19, v[5:8] offset:1024
	;; [unrolled: 2-line block ×3, first 2 shown]
	; wave barrier
	ds_load_b128 v[13:16], v21
	ds_load_b128 v[9:12], v21 offset:16
	ds_load_b128 v[5:8], v21 offset:32
	;; [unrolled: 1-line block ×3, first 2 shown]
	s_add_i32 s4, s4, -1
	s_waitcnt lgkmcnt(0)
	s_cmp_lg_u32 s4, 0
	s_barrier
	buffer_gl0_inv
	s_cbranch_scc1 .LBB117_1
; %bb.2:
	s_load_b64 s[0:1], s[0:1], 0x10
	v_lshlrev_b32_e32 v0, 4, v17
	s_waitcnt lgkmcnt(0)
	s_add_u32 s0, s0, s2
	s_addc_u32 s1, s1, s3
	s_clause 0x3
	global_store_b128 v0, v[13:16], s[0:1]
	global_store_b128 v0, v[9:12], s[0:1] offset:16
	global_store_b128 v0, v[5:8], s[0:1] offset:32
	;; [unrolled: 1-line block ×3, first 2 shown]
	s_nop 0
	s_sendmsg sendmsg(MSG_DEALLOC_VGPRS)
	s_endpgm
	.section	.rodata,"a",@progbits
	.p2align	6, 0x0
	.amdhsa_kernel _Z6kernelI23warp_striped_to_blockedN15benchmark_utils11custom_typeIddEELj256ELj4ELj100EEvPKT0_PKjPS4_
		.amdhsa_group_segment_fixed_size 16896
		.amdhsa_private_segment_fixed_size 0
		.amdhsa_kernarg_size 24
		.amdhsa_user_sgpr_count 15
		.amdhsa_user_sgpr_dispatch_ptr 0
		.amdhsa_user_sgpr_queue_ptr 0
		.amdhsa_user_sgpr_kernarg_segment_ptr 1
		.amdhsa_user_sgpr_dispatch_id 0
		.amdhsa_user_sgpr_private_segment_size 0
		.amdhsa_wavefront_size32 1
		.amdhsa_uses_dynamic_stack 0
		.amdhsa_enable_private_segment 0
		.amdhsa_system_sgpr_workgroup_id_x 1
		.amdhsa_system_sgpr_workgroup_id_y 0
		.amdhsa_system_sgpr_workgroup_id_z 0
		.amdhsa_system_sgpr_workgroup_info 0
		.amdhsa_system_vgpr_workitem_id 0
		.amdhsa_next_free_vgpr 26
		.amdhsa_next_free_sgpr 16
		.amdhsa_reserve_vcc 1
		.amdhsa_float_round_mode_32 0
		.amdhsa_float_round_mode_16_64 0
		.amdhsa_float_denorm_mode_32 3
		.amdhsa_float_denorm_mode_16_64 3
		.amdhsa_dx10_clamp 1
		.amdhsa_ieee_mode 1
		.amdhsa_fp16_overflow 0
		.amdhsa_workgroup_processor_mode 1
		.amdhsa_memory_ordered 1
		.amdhsa_forward_progress 0
		.amdhsa_shared_vgpr_count 0
		.amdhsa_exception_fp_ieee_invalid_op 0
		.amdhsa_exception_fp_denorm_src 0
		.amdhsa_exception_fp_ieee_div_zero 0
		.amdhsa_exception_fp_ieee_overflow 0
		.amdhsa_exception_fp_ieee_underflow 0
		.amdhsa_exception_fp_ieee_inexact 0
		.amdhsa_exception_int_div_zero 0
	.end_amdhsa_kernel
	.section	.text._Z6kernelI23warp_striped_to_blockedN15benchmark_utils11custom_typeIddEELj256ELj4ELj100EEvPKT0_PKjPS4_,"axG",@progbits,_Z6kernelI23warp_striped_to_blockedN15benchmark_utils11custom_typeIddEELj256ELj4ELj100EEvPKT0_PKjPS4_,comdat
.Lfunc_end117:
	.size	_Z6kernelI23warp_striped_to_blockedN15benchmark_utils11custom_typeIddEELj256ELj4ELj100EEvPKT0_PKjPS4_, .Lfunc_end117-_Z6kernelI23warp_striped_to_blockedN15benchmark_utils11custom_typeIddEELj256ELj4ELj100EEvPKT0_PKjPS4_
                                        ; -- End function
	.section	.AMDGPU.csdata,"",@progbits
; Kernel info:
; codeLenInByte = 424
; NumSgprs: 18
; NumVgprs: 26
; ScratchSize: 0
; MemoryBound: 0
; FloatMode: 240
; IeeeMode: 1
; LDSByteSize: 16896 bytes/workgroup (compile time only)
; SGPRBlocks: 2
; VGPRBlocks: 3
; NumSGPRsForWavesPerEU: 18
; NumVGPRsForWavesPerEU: 26
; Occupancy: 14
; WaveLimiterHint : 1
; COMPUTE_PGM_RSRC2:SCRATCH_EN: 0
; COMPUTE_PGM_RSRC2:USER_SGPR: 15
; COMPUTE_PGM_RSRC2:TRAP_HANDLER: 0
; COMPUTE_PGM_RSRC2:TGID_X_EN: 1
; COMPUTE_PGM_RSRC2:TGID_Y_EN: 0
; COMPUTE_PGM_RSRC2:TGID_Z_EN: 0
; COMPUTE_PGM_RSRC2:TIDIG_COMP_CNT: 0
	.section	.text._Z6kernelI23warp_striped_to_blockedN15benchmark_utils11custom_typeIddEELj256ELj7ELj100EEvPKT0_PKjPS4_,"axG",@progbits,_Z6kernelI23warp_striped_to_blockedN15benchmark_utils11custom_typeIddEELj256ELj7ELj100EEvPKT0_PKjPS4_,comdat
	.protected	_Z6kernelI23warp_striped_to_blockedN15benchmark_utils11custom_typeIddEELj256ELj7ELj100EEvPKT0_PKjPS4_ ; -- Begin function _Z6kernelI23warp_striped_to_blockedN15benchmark_utils11custom_typeIddEELj256ELj7ELj100EEvPKT0_PKjPS4_
	.globl	_Z6kernelI23warp_striped_to_blockedN15benchmark_utils11custom_typeIddEELj256ELj7ELj100EEvPKT0_PKjPS4_
	.p2align	8
	.type	_Z6kernelI23warp_striped_to_blockedN15benchmark_utils11custom_typeIddEELj256ELj7ELj100EEvPKT0_PKjPS4_,@function
_Z6kernelI23warp_striped_to_blockedN15benchmark_utils11custom_typeIddEELj256ELj7ELj100EEvPKT0_PKjPS4_: ; @_Z6kernelI23warp_striped_to_blockedN15benchmark_utils11custom_typeIddEELj256ELj7ELj100EEvPKT0_PKjPS4_
; %bb.0:
	s_load_b64 s[4:5], s[0:1], 0x0
	v_and_b32_e32 v1, 0xe0, v0
	v_mbcnt_lo_u32_b32 v29, -1, 0
	s_mov_b32 s3, 0
	s_mul_i32 s2, s15, 0x700
	v_lshrrev_b32_e32 v31, 5, v0
	v_mul_u32_u24_e32 v1, 7, v1
	v_lshlrev_b32_e32 v30, 4, v29
	s_lshl_b64 s[2:3], s[2:3], 4
	v_mul_u32_u24_e32 v32, 7, v29
	v_mul_u32_u24_e32 v31, 0xe0, v31
	v_lshlrev_b32_e32 v1, 4, v1
	s_delay_alu instid0(VALU_DEP_2) | instskip(SKIP_4) | instid1(VALU_DEP_1)
	v_lshl_or_b32 v29, v31, 4, v30
	s_waitcnt lgkmcnt(0)
	s_add_u32 s4, s4, s2
	s_addc_u32 s5, s5, s3
	v_add_co_u32 v2, s4, s4, v30
	v_add_co_ci_u32_e64 v3, null, s5, 0, s4
	v_add_lshl_u32 v30, v32, v31, 4
	s_delay_alu instid0(VALU_DEP_3) | instskip(NEXT) | instid1(VALU_DEP_3)
	v_add_co_u32 v25, vcc_lo, v2, v1
	v_add_co_ci_u32_e32 v26, vcc_lo, 0, v3, vcc_lo
	s_movk_i32 s4, 0x64
	s_clause 0x6
	global_load_b128 v[13:16], v[25:26], off
	global_load_b128 v[9:12], v[25:26], off offset:512
	global_load_b128 v[5:8], v[25:26], off offset:1024
	;; [unrolled: 1-line block ×6, first 2 shown]
	.p2align	6
.LBB118_1:                              ; =>This Inner Loop Header: Depth=1
	s_waitcnt vmcnt(6)
	ds_store_b128 v29, v[13:16]
	s_waitcnt vmcnt(5)
	ds_store_b128 v29, v[9:12] offset:512
	s_waitcnt vmcnt(4)
	ds_store_b128 v29, v[5:8] offset:1024
	;; [unrolled: 2-line block ×6, first 2 shown]
	; wave barrier
	ds_load_b128 v[13:16], v30
	ds_load_b128 v[9:12], v30 offset:16
	ds_load_b128 v[5:8], v30 offset:32
	;; [unrolled: 1-line block ×6, first 2 shown]
	s_add_i32 s4, s4, -1
	s_waitcnt lgkmcnt(0)
	s_cmp_lg_u32 s4, 0
	s_barrier
	buffer_gl0_inv
	s_cbranch_scc1 .LBB118_1
; %bb.2:
	s_load_b64 s[0:1], s[0:1], 0x10
	v_mul_u32_u24_e32 v0, 7, v0
	s_delay_alu instid0(VALU_DEP_1)
	v_lshlrev_b32_e32 v0, 4, v0
	s_waitcnt lgkmcnt(0)
	s_add_u32 s0, s0, s2
	s_addc_u32 s1, s1, s3
	s_clause 0x6
	global_store_b128 v0, v[13:16], s[0:1]
	global_store_b128 v0, v[9:12], s[0:1] offset:16
	global_store_b128 v0, v[5:8], s[0:1] offset:32
	;; [unrolled: 1-line block ×6, first 2 shown]
	s_nop 0
	s_sendmsg sendmsg(MSG_DEALLOC_VGPRS)
	s_endpgm
	.section	.rodata,"a",@progbits
	.p2align	6, 0x0
	.amdhsa_kernel _Z6kernelI23warp_striped_to_blockedN15benchmark_utils11custom_typeIddEELj256ELj7ELj100EEvPKT0_PKjPS4_
		.amdhsa_group_segment_fixed_size 28672
		.amdhsa_private_segment_fixed_size 0
		.amdhsa_kernarg_size 24
		.amdhsa_user_sgpr_count 15
		.amdhsa_user_sgpr_dispatch_ptr 0
		.amdhsa_user_sgpr_queue_ptr 0
		.amdhsa_user_sgpr_kernarg_segment_ptr 1
		.amdhsa_user_sgpr_dispatch_id 0
		.amdhsa_user_sgpr_private_segment_size 0
		.amdhsa_wavefront_size32 1
		.amdhsa_uses_dynamic_stack 0
		.amdhsa_enable_private_segment 0
		.amdhsa_system_sgpr_workgroup_id_x 1
		.amdhsa_system_sgpr_workgroup_id_y 0
		.amdhsa_system_sgpr_workgroup_id_z 0
		.amdhsa_system_sgpr_workgroup_info 0
		.amdhsa_system_vgpr_workitem_id 0
		.amdhsa_next_free_vgpr 33
		.amdhsa_next_free_sgpr 16
		.amdhsa_reserve_vcc 1
		.amdhsa_float_round_mode_32 0
		.amdhsa_float_round_mode_16_64 0
		.amdhsa_float_denorm_mode_32 3
		.amdhsa_float_denorm_mode_16_64 3
		.amdhsa_dx10_clamp 1
		.amdhsa_ieee_mode 1
		.amdhsa_fp16_overflow 0
		.amdhsa_workgroup_processor_mode 1
		.amdhsa_memory_ordered 1
		.amdhsa_forward_progress 0
		.amdhsa_shared_vgpr_count 0
		.amdhsa_exception_fp_ieee_invalid_op 0
		.amdhsa_exception_fp_denorm_src 0
		.amdhsa_exception_fp_ieee_div_zero 0
		.amdhsa_exception_fp_ieee_overflow 0
		.amdhsa_exception_fp_ieee_underflow 0
		.amdhsa_exception_fp_ieee_inexact 0
		.amdhsa_exception_int_div_zero 0
	.end_amdhsa_kernel
	.section	.text._Z6kernelI23warp_striped_to_blockedN15benchmark_utils11custom_typeIddEELj256ELj7ELj100EEvPKT0_PKjPS4_,"axG",@progbits,_Z6kernelI23warp_striped_to_blockedN15benchmark_utils11custom_typeIddEELj256ELj7ELj100EEvPKT0_PKjPS4_,comdat
.Lfunc_end118:
	.size	_Z6kernelI23warp_striped_to_blockedN15benchmark_utils11custom_typeIddEELj256ELj7ELj100EEvPKT0_PKjPS4_, .Lfunc_end118-_Z6kernelI23warp_striped_to_blockedN15benchmark_utils11custom_typeIddEELj256ELj7ELj100EEvPKT0_PKjPS4_
                                        ; -- End function
	.section	.AMDGPU.csdata,"",@progbits
; Kernel info:
; codeLenInByte = 468
; NumSgprs: 18
; NumVgprs: 33
; ScratchSize: 0
; MemoryBound: 1
; FloatMode: 240
; IeeeMode: 1
; LDSByteSize: 28672 bytes/workgroup (compile time only)
; SGPRBlocks: 2
; VGPRBlocks: 4
; NumSGPRsForWavesPerEU: 18
; NumVGPRsForWavesPerEU: 33
; Occupancy: 8
; WaveLimiterHint : 1
; COMPUTE_PGM_RSRC2:SCRATCH_EN: 0
; COMPUTE_PGM_RSRC2:USER_SGPR: 15
; COMPUTE_PGM_RSRC2:TRAP_HANDLER: 0
; COMPUTE_PGM_RSRC2:TGID_X_EN: 1
; COMPUTE_PGM_RSRC2:TGID_Y_EN: 0
; COMPUTE_PGM_RSRC2:TGID_Z_EN: 0
; COMPUTE_PGM_RSRC2:TIDIG_COMP_CNT: 0
	.section	.text._Z6kernelI23warp_striped_to_blockedN15benchmark_utils11custom_typeIddEELj256ELj8ELj100EEvPKT0_PKjPS4_,"axG",@progbits,_Z6kernelI23warp_striped_to_blockedN15benchmark_utils11custom_typeIddEELj256ELj8ELj100EEvPKT0_PKjPS4_,comdat
	.protected	_Z6kernelI23warp_striped_to_blockedN15benchmark_utils11custom_typeIddEELj256ELj8ELj100EEvPKT0_PKjPS4_ ; -- Begin function _Z6kernelI23warp_striped_to_blockedN15benchmark_utils11custom_typeIddEELj256ELj8ELj100EEvPKT0_PKjPS4_
	.globl	_Z6kernelI23warp_striped_to_blockedN15benchmark_utils11custom_typeIddEELj256ELj8ELj100EEvPKT0_PKjPS4_
	.p2align	8
	.type	_Z6kernelI23warp_striped_to_blockedN15benchmark_utils11custom_typeIddEELj256ELj8ELj100EEvPKT0_PKjPS4_,@function
_Z6kernelI23warp_striped_to_blockedN15benchmark_utils11custom_typeIddEELj256ELj8ELj100EEvPKT0_PKjPS4_: ; @_Z6kernelI23warp_striped_to_blockedN15benchmark_utils11custom_typeIddEELj256ELj8ELj100EEvPKT0_PKjPS4_
; %bb.0:
	s_load_b64 s[4:5], s[0:1], 0x0
	v_lshlrev_b32_e32 v33, 3, v0
	v_mbcnt_lo_u32_b32 v38, -1, 0
	s_mov_b32 s3, 0
	s_lshl_b32 s2, s15, 11
	s_delay_alu instid0(VALU_DEP_2) | instskip(NEXT) | instid1(VALU_DEP_2)
	v_and_b32_e32 v39, 0x700, v33
	v_lshlrev_b32_e32 v1, 4, v38
	s_lshl_b64 s[2:3], s[2:3], 4
	v_and_or_b32 v0, 0xe0, v0, v38
	s_delay_alu instid0(VALU_DEP_3)
	v_lshlrev_b32_e32 v2, 4, v39
	v_or_b32_e32 v35, v38, v39
	v_or_b32_e32 v36, 32, v39
	;; [unrolled: 1-line block ×4, first 2 shown]
	v_lshrrev_b16 v34, 1, v39
	v_lshlrev_b32_e32 v41, 4, v35
	v_lshrrev_b32_e32 v35, 1, v36
	v_lshrrev_b32_e32 v36, 1, v37
	s_waitcnt lgkmcnt(0)
	s_add_u32 s4, s4, s2
	s_addc_u32 s5, s5, s3
	v_add_co_u32 v1, s4, s4, v1
	s_delay_alu instid0(VALU_DEP_1) | instskip(SKIP_1) | instid1(VALU_DEP_3)
	v_add_co_ci_u32_e64 v3, null, s5, 0, s4
	v_lshrrev_b32_e32 v37, 1, v40
	v_add_co_u32 v29, vcc_lo, v1, v2
	s_delay_alu instid0(VALU_DEP_3)
	v_add_co_ci_u32_e32 v30, vcc_lo, 0, v3, vcc_lo
	v_or_b32_e32 v40, 0x80, v39
	v_or_b32_e32 v42, 0xa0, v39
	v_or_b32_e32 v43, 0xc0, v39
	s_clause 0x7
	global_load_b128 v[13:16], v[29:30], off
	global_load_b128 v[9:12], v[29:30], off offset:512
	global_load_b128 v[5:8], v[29:30], off offset:1024
	;; [unrolled: 1-line block ×7, first 2 shown]
	v_or_b32_e32 v39, 0xe0, v39
	v_and_b32_e32 v34, 0xffff, v34
	v_lshrrev_b32_e32 v38, 1, v40
	v_lshrrev_b32_e32 v40, 1, v42
	;; [unrolled: 1-line block ×4, first 2 shown]
	v_lshlrev_b32_e32 v44, 3, v0
	v_bfe_u32 v45, v0, 2, 27
	v_add_nc_u32_e32 v34, v34, v41
	v_add_nc_u32_e32 v35, v35, v41
	;; [unrolled: 1-line block ×8, first 2 shown]
	v_add_lshl_u32 v41, v45, v44, 4
	s_movk_i32 s4, 0x64
	s_set_inst_prefetch_distance 0x1
	.p2align	6
.LBB119_1:                              ; =>This Inner Loop Header: Depth=1
	s_waitcnt vmcnt(7)
	ds_store_b128 v34, v[13:16]
	s_waitcnt vmcnt(6)
	ds_store_b128 v35, v[9:12] offset:512
	s_waitcnt vmcnt(5)
	ds_store_b128 v36, v[5:8] offset:1024
	;; [unrolled: 2-line block ×7, first 2 shown]
	; wave barrier
	ds_load_b128 v[13:16], v41
	ds_load_b128 v[9:12], v41 offset:16
	ds_load_b128 v[5:8], v41 offset:32
	ds_load_b128 v[1:4], v41 offset:48
	ds_load_b128 v[17:20], v41 offset:64
	ds_load_b128 v[21:24], v41 offset:80
	ds_load_b128 v[25:28], v41 offset:96
	ds_load_b128 v[29:32], v41 offset:112
	s_add_i32 s4, s4, -1
	s_waitcnt lgkmcnt(0)
	s_cmp_lg_u32 s4, 0
	s_barrier
	buffer_gl0_inv
	s_cbranch_scc1 .LBB119_1
; %bb.2:
	s_set_inst_prefetch_distance 0x2
	s_load_b64 s[0:1], s[0:1], 0x10
	v_lshlrev_b32_e32 v0, 4, v33
	s_waitcnt lgkmcnt(0)
	s_add_u32 s0, s0, s2
	s_addc_u32 s1, s1, s3
	s_clause 0x7
	global_store_b128 v0, v[13:16], s[0:1]
	global_store_b128 v0, v[9:12], s[0:1] offset:16
	global_store_b128 v0, v[5:8], s[0:1] offset:32
	;; [unrolled: 1-line block ×7, first 2 shown]
	s_nop 0
	s_sendmsg sendmsg(MSG_DEALLOC_VGPRS)
	s_endpgm
	.section	.rodata,"a",@progbits
	.p2align	6, 0x0
	.amdhsa_kernel _Z6kernelI23warp_striped_to_blockedN15benchmark_utils11custom_typeIddEELj256ELj8ELj100EEvPKT0_PKjPS4_
		.amdhsa_group_segment_fixed_size 33792
		.amdhsa_private_segment_fixed_size 0
		.amdhsa_kernarg_size 24
		.amdhsa_user_sgpr_count 15
		.amdhsa_user_sgpr_dispatch_ptr 0
		.amdhsa_user_sgpr_queue_ptr 0
		.amdhsa_user_sgpr_kernarg_segment_ptr 1
		.amdhsa_user_sgpr_dispatch_id 0
		.amdhsa_user_sgpr_private_segment_size 0
		.amdhsa_wavefront_size32 1
		.amdhsa_uses_dynamic_stack 0
		.amdhsa_enable_private_segment 0
		.amdhsa_system_sgpr_workgroup_id_x 1
		.amdhsa_system_sgpr_workgroup_id_y 0
		.amdhsa_system_sgpr_workgroup_id_z 0
		.amdhsa_system_sgpr_workgroup_info 0
		.amdhsa_system_vgpr_workitem_id 0
		.amdhsa_next_free_vgpr 46
		.amdhsa_next_free_sgpr 16
		.amdhsa_reserve_vcc 1
		.amdhsa_float_round_mode_32 0
		.amdhsa_float_round_mode_16_64 0
		.amdhsa_float_denorm_mode_32 3
		.amdhsa_float_denorm_mode_16_64 3
		.amdhsa_dx10_clamp 1
		.amdhsa_ieee_mode 1
		.amdhsa_fp16_overflow 0
		.amdhsa_workgroup_processor_mode 1
		.amdhsa_memory_ordered 1
		.amdhsa_forward_progress 0
		.amdhsa_shared_vgpr_count 0
		.amdhsa_exception_fp_ieee_invalid_op 0
		.amdhsa_exception_fp_denorm_src 0
		.amdhsa_exception_fp_ieee_div_zero 0
		.amdhsa_exception_fp_ieee_overflow 0
		.amdhsa_exception_fp_ieee_underflow 0
		.amdhsa_exception_fp_ieee_inexact 0
		.amdhsa_exception_int_div_zero 0
	.end_amdhsa_kernel
	.section	.text._Z6kernelI23warp_striped_to_blockedN15benchmark_utils11custom_typeIddEELj256ELj8ELj100EEvPKT0_PKjPS4_,"axG",@progbits,_Z6kernelI23warp_striped_to_blockedN15benchmark_utils11custom_typeIddEELj256ELj8ELj100EEvPKT0_PKjPS4_,comdat
.Lfunc_end119:
	.size	_Z6kernelI23warp_striped_to_blockedN15benchmark_utils11custom_typeIddEELj256ELj8ELj100EEvPKT0_PKjPS4_, .Lfunc_end119-_Z6kernelI23warp_striped_to_blockedN15benchmark_utils11custom_typeIddEELj256ELj8ELj100EEvPKT0_PKjPS4_
                                        ; -- End function
	.section	.AMDGPU.csdata,"",@progbits
; Kernel info:
; codeLenInByte = 640
; NumSgprs: 18
; NumVgprs: 46
; ScratchSize: 0
; MemoryBound: 0
; FloatMode: 240
; IeeeMode: 1
; LDSByteSize: 33792 bytes/workgroup (compile time only)
; SGPRBlocks: 2
; VGPRBlocks: 5
; NumSGPRsForWavesPerEU: 18
; NumVGPRsForWavesPerEU: 46
; Occupancy: 6
; WaveLimiterHint : 1
; COMPUTE_PGM_RSRC2:SCRATCH_EN: 0
; COMPUTE_PGM_RSRC2:USER_SGPR: 15
; COMPUTE_PGM_RSRC2:TRAP_HANDLER: 0
; COMPUTE_PGM_RSRC2:TGID_X_EN: 1
; COMPUTE_PGM_RSRC2:TGID_Y_EN: 0
; COMPUTE_PGM_RSRC2:TGID_Z_EN: 0
; COMPUTE_PGM_RSRC2:TIDIG_COMP_CNT: 0
	.section	.text._Z6kernelI18scatter_to_blockediLj256ELj1ELj100EEvPKT0_PKjPS1_,"axG",@progbits,_Z6kernelI18scatter_to_blockediLj256ELj1ELj100EEvPKT0_PKjPS1_,comdat
	.protected	_Z6kernelI18scatter_to_blockediLj256ELj1ELj100EEvPKT0_PKjPS1_ ; -- Begin function _Z6kernelI18scatter_to_blockediLj256ELj1ELj100EEvPKT0_PKjPS1_
	.globl	_Z6kernelI18scatter_to_blockediLj256ELj1ELj100EEvPKT0_PKjPS1_
	.p2align	8
	.type	_Z6kernelI18scatter_to_blockediLj256ELj1ELj100EEvPKT0_PKjPS1_,@function
_Z6kernelI18scatter_to_blockediLj256ELj1ELj100EEvPKT0_PKjPS1_: ; @_Z6kernelI18scatter_to_blockediLj256ELj1ELj100EEvPKT0_PKjPS1_
; %bb.0:
	s_load_b128 s[4:7], s[0:1], 0x0
	s_mov_b32 s3, 0
	s_lshl_b32 s2, s15, 8
	v_lshlrev_b32_e32 v1, 2, v0
	s_lshl_b64 s[2:3], s[2:3], 2
	s_load_b64 s[0:1], s[0:1], 0x10
	s_waitcnt lgkmcnt(0)
	s_add_u32 s4, s4, s2
	s_addc_u32 s5, s5, s3
	s_add_u32 s6, s6, s2
	s_addc_u32 s7, s7, s3
	s_clause 0x1
	global_load_b32 v3, v1, s[6:7]
	global_load_b32 v2, v1, s[4:5]
	s_movk_i32 s4, 0x64
	s_waitcnt vmcnt(1)
	v_lshlrev_b32_e32 v3, 2, v3
.LBB120_1:                              ; =>This Inner Loop Header: Depth=1
	s_waitcnt vmcnt(0)
	ds_store_b32 v3, v2
	s_waitcnt lgkmcnt(0)
	s_barrier
	buffer_gl0_inv
	ds_load_b32 v2, v1
	s_add_i32 s4, s4, -1
	s_waitcnt lgkmcnt(0)
	s_cmp_lg_u32 s4, 0
	s_barrier
	buffer_gl0_inv
	s_cbranch_scc1 .LBB120_1
; %bb.2:
	v_lshlrev_b32_e32 v0, 2, v0
	s_add_u32 s0, s0, s2
	s_addc_u32 s1, s1, s3
	global_store_b32 v0, v2, s[0:1]
	s_nop 0
	s_sendmsg sendmsg(MSG_DEALLOC_VGPRS)
	s_endpgm
	.section	.rodata,"a",@progbits
	.p2align	6, 0x0
	.amdhsa_kernel _Z6kernelI18scatter_to_blockediLj256ELj1ELj100EEvPKT0_PKjPS1_
		.amdhsa_group_segment_fixed_size 1024
		.amdhsa_private_segment_fixed_size 0
		.amdhsa_kernarg_size 24
		.amdhsa_user_sgpr_count 15
		.amdhsa_user_sgpr_dispatch_ptr 0
		.amdhsa_user_sgpr_queue_ptr 0
		.amdhsa_user_sgpr_kernarg_segment_ptr 1
		.amdhsa_user_sgpr_dispatch_id 0
		.amdhsa_user_sgpr_private_segment_size 0
		.amdhsa_wavefront_size32 1
		.amdhsa_uses_dynamic_stack 0
		.amdhsa_enable_private_segment 0
		.amdhsa_system_sgpr_workgroup_id_x 1
		.amdhsa_system_sgpr_workgroup_id_y 0
		.amdhsa_system_sgpr_workgroup_id_z 0
		.amdhsa_system_sgpr_workgroup_info 0
		.amdhsa_system_vgpr_workitem_id 0
		.amdhsa_next_free_vgpr 4
		.amdhsa_next_free_sgpr 16
		.amdhsa_reserve_vcc 0
		.amdhsa_float_round_mode_32 0
		.amdhsa_float_round_mode_16_64 0
		.amdhsa_float_denorm_mode_32 3
		.amdhsa_float_denorm_mode_16_64 3
		.amdhsa_dx10_clamp 1
		.amdhsa_ieee_mode 1
		.amdhsa_fp16_overflow 0
		.amdhsa_workgroup_processor_mode 1
		.amdhsa_memory_ordered 1
		.amdhsa_forward_progress 0
		.amdhsa_shared_vgpr_count 0
		.amdhsa_exception_fp_ieee_invalid_op 0
		.amdhsa_exception_fp_denorm_src 0
		.amdhsa_exception_fp_ieee_div_zero 0
		.amdhsa_exception_fp_ieee_overflow 0
		.amdhsa_exception_fp_ieee_underflow 0
		.amdhsa_exception_fp_ieee_inexact 0
		.amdhsa_exception_int_div_zero 0
	.end_amdhsa_kernel
	.section	.text._Z6kernelI18scatter_to_blockediLj256ELj1ELj100EEvPKT0_PKjPS1_,"axG",@progbits,_Z6kernelI18scatter_to_blockediLj256ELj1ELj100EEvPKT0_PKjPS1_,comdat
.Lfunc_end120:
	.size	_Z6kernelI18scatter_to_blockediLj256ELj1ELj100EEvPKT0_PKjPS1_, .Lfunc_end120-_Z6kernelI18scatter_to_blockediLj256ELj1ELj100EEvPKT0_PKjPS1_
                                        ; -- End function
	.section	.AMDGPU.csdata,"",@progbits
; Kernel info:
; codeLenInByte = 180
; NumSgprs: 16
; NumVgprs: 4
; ScratchSize: 0
; MemoryBound: 0
; FloatMode: 240
; IeeeMode: 1
; LDSByteSize: 1024 bytes/workgroup (compile time only)
; SGPRBlocks: 1
; VGPRBlocks: 0
; NumSGPRsForWavesPerEU: 16
; NumVGPRsForWavesPerEU: 4
; Occupancy: 16
; WaveLimiterHint : 0
; COMPUTE_PGM_RSRC2:SCRATCH_EN: 0
; COMPUTE_PGM_RSRC2:USER_SGPR: 15
; COMPUTE_PGM_RSRC2:TRAP_HANDLER: 0
; COMPUTE_PGM_RSRC2:TGID_X_EN: 1
; COMPUTE_PGM_RSRC2:TGID_Y_EN: 0
; COMPUTE_PGM_RSRC2:TGID_Z_EN: 0
; COMPUTE_PGM_RSRC2:TIDIG_COMP_CNT: 0
	.section	.text._Z6kernelI18scatter_to_blockediLj256ELj2ELj100EEvPKT0_PKjPS1_,"axG",@progbits,_Z6kernelI18scatter_to_blockediLj256ELj2ELj100EEvPKT0_PKjPS1_,comdat
	.protected	_Z6kernelI18scatter_to_blockediLj256ELj2ELj100EEvPKT0_PKjPS1_ ; -- Begin function _Z6kernelI18scatter_to_blockediLj256ELj2ELj100EEvPKT0_PKjPS1_
	.globl	_Z6kernelI18scatter_to_blockediLj256ELj2ELj100EEvPKT0_PKjPS1_
	.p2align	8
	.type	_Z6kernelI18scatter_to_blockediLj256ELj2ELj100EEvPKT0_PKjPS1_,@function
_Z6kernelI18scatter_to_blockediLj256ELj2ELj100EEvPKT0_PKjPS1_: ; @_Z6kernelI18scatter_to_blockediLj256ELj2ELj100EEvPKT0_PKjPS1_
; %bb.0:
	s_load_b128 s[4:7], s[0:1], 0x0
	s_mov_b32 s3, 0
	s_lshl_b32 s2, s15, 9
	v_lshlrev_b32_e32 v2, 2, v0
	s_lshl_b64 s[2:3], s[2:3], 2
	s_load_b64 s[0:1], s[0:1], 0x10
	v_lshlrev_b32_e32 v3, 1, v0
	v_lshrrev_b32_e32 v8, 4, v0
	s_waitcnt lgkmcnt(0)
	s_add_u32 s4, s4, s2
	s_addc_u32 s5, s5, s3
	s_add_u32 s6, s6, s2
	s_addc_u32 s7, s7, s3
	s_clause 0x3
	global_load_b32 v4, v2, s[6:7]
	global_load_b32 v5, v2, s[6:7] offset:1024
	global_load_b32 v1, v2, s[4:5]
	global_load_b32 v2, v2, s[4:5] offset:1024
	s_movk_i32 s4, 0x64
	s_waitcnt vmcnt(3)
	v_lshrrev_b32_e32 v6, 3, v4
	s_waitcnt vmcnt(2)
	v_lshrrev_b32_e32 v7, 3, v5
	s_delay_alu instid0(VALU_DEP_2) | instskip(NEXT) | instid1(VALU_DEP_2)
	v_and_b32_e32 v6, 0x1ffffffc, v6
	v_and_b32_e32 v7, 0x1ffffffc, v7
	s_delay_alu instid0(VALU_DEP_2) | instskip(NEXT) | instid1(VALU_DEP_2)
	v_lshl_add_u32 v0, v4, 2, v6
	v_lshl_add_u32 v4, v5, 2, v7
	v_add_lshl_u32 v5, v8, v3, 2
.LBB121_1:                              ; =>This Inner Loop Header: Depth=1
	s_waitcnt vmcnt(1)
	ds_store_b32 v0, v1
	s_waitcnt vmcnt(0)
	ds_store_b32 v4, v2
	s_waitcnt lgkmcnt(0)
	s_barrier
	buffer_gl0_inv
	ds_load_2addr_b32 v[1:2], v5 offset1:1
	s_add_i32 s4, s4, -1
	s_waitcnt lgkmcnt(0)
	s_cmp_lg_u32 s4, 0
	s_barrier
	buffer_gl0_inv
	s_cbranch_scc1 .LBB121_1
; %bb.2:
	v_lshlrev_b32_e32 v0, 2, v3
	s_add_u32 s0, s0, s2
	s_addc_u32 s1, s1, s3
	global_store_b64 v0, v[1:2], s[0:1]
	s_nop 0
	s_sendmsg sendmsg(MSG_DEALLOC_VGPRS)
	s_endpgm
	.section	.rodata,"a",@progbits
	.p2align	6, 0x0
	.amdhsa_kernel _Z6kernelI18scatter_to_blockediLj256ELj2ELj100EEvPKT0_PKjPS1_
		.amdhsa_group_segment_fixed_size 2112
		.amdhsa_private_segment_fixed_size 0
		.amdhsa_kernarg_size 24
		.amdhsa_user_sgpr_count 15
		.amdhsa_user_sgpr_dispatch_ptr 0
		.amdhsa_user_sgpr_queue_ptr 0
		.amdhsa_user_sgpr_kernarg_segment_ptr 1
		.amdhsa_user_sgpr_dispatch_id 0
		.amdhsa_user_sgpr_private_segment_size 0
		.amdhsa_wavefront_size32 1
		.amdhsa_uses_dynamic_stack 0
		.amdhsa_enable_private_segment 0
		.amdhsa_system_sgpr_workgroup_id_x 1
		.amdhsa_system_sgpr_workgroup_id_y 0
		.amdhsa_system_sgpr_workgroup_id_z 0
		.amdhsa_system_sgpr_workgroup_info 0
		.amdhsa_system_vgpr_workitem_id 0
		.amdhsa_next_free_vgpr 9
		.amdhsa_next_free_sgpr 16
		.amdhsa_reserve_vcc 0
		.amdhsa_float_round_mode_32 0
		.amdhsa_float_round_mode_16_64 0
		.amdhsa_float_denorm_mode_32 3
		.amdhsa_float_denorm_mode_16_64 3
		.amdhsa_dx10_clamp 1
		.amdhsa_ieee_mode 1
		.amdhsa_fp16_overflow 0
		.amdhsa_workgroup_processor_mode 1
		.amdhsa_memory_ordered 1
		.amdhsa_forward_progress 0
		.amdhsa_shared_vgpr_count 0
		.amdhsa_exception_fp_ieee_invalid_op 0
		.amdhsa_exception_fp_denorm_src 0
		.amdhsa_exception_fp_ieee_div_zero 0
		.amdhsa_exception_fp_ieee_overflow 0
		.amdhsa_exception_fp_ieee_underflow 0
		.amdhsa_exception_fp_ieee_inexact 0
		.amdhsa_exception_int_div_zero 0
	.end_amdhsa_kernel
	.section	.text._Z6kernelI18scatter_to_blockediLj256ELj2ELj100EEvPKT0_PKjPS1_,"axG",@progbits,_Z6kernelI18scatter_to_blockediLj256ELj2ELj100EEvPKT0_PKjPS1_,comdat
.Lfunc_end121:
	.size	_Z6kernelI18scatter_to_blockediLj256ELj2ELj100EEvPKT0_PKjPS1_, .Lfunc_end121-_Z6kernelI18scatter_to_blockediLj256ELj2ELj100EEvPKT0_PKjPS1_
                                        ; -- End function
	.section	.AMDGPU.csdata,"",@progbits
; Kernel info:
; codeLenInByte = 272
; NumSgprs: 16
; NumVgprs: 9
; ScratchSize: 0
; MemoryBound: 0
; FloatMode: 240
; IeeeMode: 1
; LDSByteSize: 2112 bytes/workgroup (compile time only)
; SGPRBlocks: 1
; VGPRBlocks: 1
; NumSGPRsForWavesPerEU: 16
; NumVGPRsForWavesPerEU: 9
; Occupancy: 16
; WaveLimiterHint : 1
; COMPUTE_PGM_RSRC2:SCRATCH_EN: 0
; COMPUTE_PGM_RSRC2:USER_SGPR: 15
; COMPUTE_PGM_RSRC2:TRAP_HANDLER: 0
; COMPUTE_PGM_RSRC2:TGID_X_EN: 1
; COMPUTE_PGM_RSRC2:TGID_Y_EN: 0
; COMPUTE_PGM_RSRC2:TGID_Z_EN: 0
; COMPUTE_PGM_RSRC2:TIDIG_COMP_CNT: 0
	.section	.text._Z6kernelI18scatter_to_blockediLj256ELj3ELj100EEvPKT0_PKjPS1_,"axG",@progbits,_Z6kernelI18scatter_to_blockediLj256ELj3ELj100EEvPKT0_PKjPS1_,comdat
	.protected	_Z6kernelI18scatter_to_blockediLj256ELj3ELj100EEvPKT0_PKjPS1_ ; -- Begin function _Z6kernelI18scatter_to_blockediLj256ELj3ELj100EEvPKT0_PKjPS1_
	.globl	_Z6kernelI18scatter_to_blockediLj256ELj3ELj100EEvPKT0_PKjPS1_
	.p2align	8
	.type	_Z6kernelI18scatter_to_blockediLj256ELj3ELj100EEvPKT0_PKjPS1_,@function
_Z6kernelI18scatter_to_blockediLj256ELj3ELj100EEvPKT0_PKjPS1_: ; @_Z6kernelI18scatter_to_blockediLj256ELj3ELj100EEvPKT0_PKjPS1_
; %bb.0:
	s_load_b128 s[4:7], s[0:1], 0x0
	s_mov_b32 s3, 0
	s_mul_i32 s2, s15, 0x300
	v_lshlrev_b32_e32 v3, 2, v0
	s_lshl_b64 s[2:3], s[2:3], 2
	s_load_b64 s[0:1], s[0:1], 0x10
	v_mul_u32_u24_e32 v0, 3, v0
	s_delay_alu instid0(VALU_DEP_1)
	v_lshlrev_b32_e32 v0, 2, v0
	s_waitcnt lgkmcnt(0)
	s_add_u32 s4, s4, s2
	s_addc_u32 s5, s5, s3
	s_add_u32 s6, s6, s2
	s_addc_u32 s7, s7, s3
	s_clause 0x5
	global_load_b32 v4, v3, s[6:7]
	global_load_b32 v5, v3, s[6:7] offset:1024
	global_load_b32 v6, v3, s[6:7] offset:2048
	global_load_b32 v1, v3, s[4:5]
	global_load_b32 v2, v3, s[4:5] offset:1024
	global_load_b32 v3, v3, s[4:5] offset:2048
	s_movk_i32 s4, 0x64
	s_waitcnt vmcnt(5)
	v_lshlrev_b32_e32 v4, 2, v4
	s_waitcnt vmcnt(4)
	v_lshlrev_b32_e32 v5, 2, v5
	;; [unrolled: 2-line block ×3, first 2 shown]
.LBB122_1:                              ; =>This Inner Loop Header: Depth=1
	s_waitcnt vmcnt(2)
	ds_store_b32 v4, v1
	s_waitcnt vmcnt(1)
	ds_store_b32 v5, v2
	;; [unrolled: 2-line block ×3, first 2 shown]
	s_waitcnt lgkmcnt(0)
	s_barrier
	buffer_gl0_inv
	ds_load_2addr_b32 v[1:2], v0 offset1:1
	ds_load_b32 v3, v0 offset:8
	s_add_i32 s4, s4, -1
	s_waitcnt lgkmcnt(0)
	s_cmp_lg_u32 s4, 0
	s_barrier
	buffer_gl0_inv
	s_cbranch_scc1 .LBB122_1
; %bb.2:
	s_add_u32 s0, s0, s2
	s_addc_u32 s1, s1, s3
	global_store_b96 v0, v[1:3], s[0:1]
	s_nop 0
	s_sendmsg sendmsg(MSG_DEALLOC_VGPRS)
	s_endpgm
	.section	.rodata,"a",@progbits
	.p2align	6, 0x0
	.amdhsa_kernel _Z6kernelI18scatter_to_blockediLj256ELj3ELj100EEvPKT0_PKjPS1_
		.amdhsa_group_segment_fixed_size 3072
		.amdhsa_private_segment_fixed_size 0
		.amdhsa_kernarg_size 24
		.amdhsa_user_sgpr_count 15
		.amdhsa_user_sgpr_dispatch_ptr 0
		.amdhsa_user_sgpr_queue_ptr 0
		.amdhsa_user_sgpr_kernarg_segment_ptr 1
		.amdhsa_user_sgpr_dispatch_id 0
		.amdhsa_user_sgpr_private_segment_size 0
		.amdhsa_wavefront_size32 1
		.amdhsa_uses_dynamic_stack 0
		.amdhsa_enable_private_segment 0
		.amdhsa_system_sgpr_workgroup_id_x 1
		.amdhsa_system_sgpr_workgroup_id_y 0
		.amdhsa_system_sgpr_workgroup_id_z 0
		.amdhsa_system_sgpr_workgroup_info 0
		.amdhsa_system_vgpr_workitem_id 0
		.amdhsa_next_free_vgpr 7
		.amdhsa_next_free_sgpr 16
		.amdhsa_reserve_vcc 0
		.amdhsa_float_round_mode_32 0
		.amdhsa_float_round_mode_16_64 0
		.amdhsa_float_denorm_mode_32 3
		.amdhsa_float_denorm_mode_16_64 3
		.amdhsa_dx10_clamp 1
		.amdhsa_ieee_mode 1
		.amdhsa_fp16_overflow 0
		.amdhsa_workgroup_processor_mode 1
		.amdhsa_memory_ordered 1
		.amdhsa_forward_progress 0
		.amdhsa_shared_vgpr_count 0
		.amdhsa_exception_fp_ieee_invalid_op 0
		.amdhsa_exception_fp_denorm_src 0
		.amdhsa_exception_fp_ieee_div_zero 0
		.amdhsa_exception_fp_ieee_overflow 0
		.amdhsa_exception_fp_ieee_underflow 0
		.amdhsa_exception_fp_ieee_inexact 0
		.amdhsa_exception_int_div_zero 0
	.end_amdhsa_kernel
	.section	.text._Z6kernelI18scatter_to_blockediLj256ELj3ELj100EEvPKT0_PKjPS1_,"axG",@progbits,_Z6kernelI18scatter_to_blockediLj256ELj3ELj100EEvPKT0_PKjPS1_,comdat
.Lfunc_end122:
	.size	_Z6kernelI18scatter_to_blockediLj256ELj3ELj100EEvPKT0_PKjPS1_, .Lfunc_end122-_Z6kernelI18scatter_to_blockediLj256ELj3ELj100EEvPKT0_PKjPS1_
                                        ; -- End function
	.section	.AMDGPU.csdata,"",@progbits
; Kernel info:
; codeLenInByte = 272
; NumSgprs: 16
; NumVgprs: 7
; ScratchSize: 0
; MemoryBound: 0
; FloatMode: 240
; IeeeMode: 1
; LDSByteSize: 3072 bytes/workgroup (compile time only)
; SGPRBlocks: 1
; VGPRBlocks: 0
; NumSGPRsForWavesPerEU: 16
; NumVGPRsForWavesPerEU: 7
; Occupancy: 16
; WaveLimiterHint : 1
; COMPUTE_PGM_RSRC2:SCRATCH_EN: 0
; COMPUTE_PGM_RSRC2:USER_SGPR: 15
; COMPUTE_PGM_RSRC2:TRAP_HANDLER: 0
; COMPUTE_PGM_RSRC2:TGID_X_EN: 1
; COMPUTE_PGM_RSRC2:TGID_Y_EN: 0
; COMPUTE_PGM_RSRC2:TGID_Z_EN: 0
; COMPUTE_PGM_RSRC2:TIDIG_COMP_CNT: 0
	.section	.text._Z6kernelI18scatter_to_blockediLj256ELj4ELj100EEvPKT0_PKjPS1_,"axG",@progbits,_Z6kernelI18scatter_to_blockediLj256ELj4ELj100EEvPKT0_PKjPS1_,comdat
	.protected	_Z6kernelI18scatter_to_blockediLj256ELj4ELj100EEvPKT0_PKjPS1_ ; -- Begin function _Z6kernelI18scatter_to_blockediLj256ELj4ELj100EEvPKT0_PKjPS1_
	.globl	_Z6kernelI18scatter_to_blockediLj256ELj4ELj100EEvPKT0_PKjPS1_
	.p2align	8
	.type	_Z6kernelI18scatter_to_blockediLj256ELj4ELj100EEvPKT0_PKjPS1_,@function
_Z6kernelI18scatter_to_blockediLj256ELj4ELj100EEvPKT0_PKjPS1_: ; @_Z6kernelI18scatter_to_blockediLj256ELj4ELj100EEvPKT0_PKjPS1_
; %bb.0:
	s_load_b128 s[4:7], s[0:1], 0x0
	s_mov_b32 s3, 0
	s_lshl_b32 s2, s15, 10
	v_lshlrev_b32_e32 v5, 2, v0
	s_lshl_b64 s[2:3], s[2:3], 2
	s_load_b64 s[0:1], s[0:1], 0x10
	v_lshrrev_b32_e32 v14, 3, v0
	s_waitcnt lgkmcnt(0)
	s_add_u32 s4, s4, s2
	s_addc_u32 s5, s5, s3
	s_add_u32 s6, s6, s2
	s_addc_u32 s7, s7, s3
	s_clause 0x7
	global_load_b32 v6, v5, s[6:7]
	global_load_b32 v7, v5, s[6:7] offset:1024
	global_load_b32 v8, v5, s[6:7] offset:2048
	;; [unrolled: 1-line block ×3, first 2 shown]
	global_load_b32 v1, v5, s[4:5]
	global_load_b32 v2, v5, s[4:5] offset:1024
	global_load_b32 v3, v5, s[4:5] offset:2048
	;; [unrolled: 1-line block ×3, first 2 shown]
	s_movk_i32 s4, 0x64
	s_waitcnt vmcnt(7)
	v_lshrrev_b32_e32 v10, 3, v6
	s_waitcnt vmcnt(6)
	v_lshrrev_b32_e32 v11, 3, v7
	;; [unrolled: 2-line block ×4, first 2 shown]
	v_and_b32_e32 v10, 0x1ffffffc, v10
	v_and_b32_e32 v11, 0x1ffffffc, v11
	;; [unrolled: 1-line block ×3, first 2 shown]
	s_delay_alu instid0(VALU_DEP_4) | instskip(NEXT) | instid1(VALU_DEP_4)
	v_and_b32_e32 v13, 0x1ffffffc, v13
	v_lshl_add_u32 v0, v6, 2, v10
	s_delay_alu instid0(VALU_DEP_4) | instskip(NEXT) | instid1(VALU_DEP_4)
	v_lshl_add_u32 v6, v7, 2, v11
	v_lshl_add_u32 v7, v8, 2, v12
	s_delay_alu instid0(VALU_DEP_4)
	v_lshl_add_u32 v8, v9, 2, v13
	v_add_lshl_u32 v9, v14, v5, 2
	.p2align	6
.LBB123_1:                              ; =>This Inner Loop Header: Depth=1
	s_waitcnt vmcnt(3)
	ds_store_b32 v0, v1
	s_waitcnt vmcnt(2)
	ds_store_b32 v6, v2
	;; [unrolled: 2-line block ×4, first 2 shown]
	s_waitcnt lgkmcnt(0)
	s_barrier
	buffer_gl0_inv
	ds_load_2addr_b32 v[1:2], v9 offset1:1
	ds_load_2addr_b32 v[3:4], v9 offset0:2 offset1:3
	s_add_i32 s4, s4, -1
	s_waitcnt lgkmcnt(0)
	s_cmp_lg_u32 s4, 0
	s_barrier
	buffer_gl0_inv
	s_cbranch_scc1 .LBB123_1
; %bb.2:
	v_lshlrev_b32_e32 v0, 2, v5
	s_add_u32 s0, s0, s2
	s_addc_u32 s1, s1, s3
	global_store_b128 v0, v[1:4], s[0:1]
	s_nop 0
	s_sendmsg sendmsg(MSG_DEALLOC_VGPRS)
	s_endpgm
	.section	.rodata,"a",@progbits
	.p2align	6, 0x0
	.amdhsa_kernel _Z6kernelI18scatter_to_blockediLj256ELj4ELj100EEvPKT0_PKjPS1_
		.amdhsa_group_segment_fixed_size 4224
		.amdhsa_private_segment_fixed_size 0
		.amdhsa_kernarg_size 24
		.amdhsa_user_sgpr_count 15
		.amdhsa_user_sgpr_dispatch_ptr 0
		.amdhsa_user_sgpr_queue_ptr 0
		.amdhsa_user_sgpr_kernarg_segment_ptr 1
		.amdhsa_user_sgpr_dispatch_id 0
		.amdhsa_user_sgpr_private_segment_size 0
		.amdhsa_wavefront_size32 1
		.amdhsa_uses_dynamic_stack 0
		.amdhsa_enable_private_segment 0
		.amdhsa_system_sgpr_workgroup_id_x 1
		.amdhsa_system_sgpr_workgroup_id_y 0
		.amdhsa_system_sgpr_workgroup_id_z 0
		.amdhsa_system_sgpr_workgroup_info 0
		.amdhsa_system_vgpr_workitem_id 0
		.amdhsa_next_free_vgpr 15
		.amdhsa_next_free_sgpr 16
		.amdhsa_reserve_vcc 0
		.amdhsa_float_round_mode_32 0
		.amdhsa_float_round_mode_16_64 0
		.amdhsa_float_denorm_mode_32 3
		.amdhsa_float_denorm_mode_16_64 3
		.amdhsa_dx10_clamp 1
		.amdhsa_ieee_mode 1
		.amdhsa_fp16_overflow 0
		.amdhsa_workgroup_processor_mode 1
		.amdhsa_memory_ordered 1
		.amdhsa_forward_progress 0
		.amdhsa_shared_vgpr_count 0
		.amdhsa_exception_fp_ieee_invalid_op 0
		.amdhsa_exception_fp_denorm_src 0
		.amdhsa_exception_fp_ieee_div_zero 0
		.amdhsa_exception_fp_ieee_overflow 0
		.amdhsa_exception_fp_ieee_underflow 0
		.amdhsa_exception_fp_ieee_inexact 0
		.amdhsa_exception_int_div_zero 0
	.end_amdhsa_kernel
	.section	.text._Z6kernelI18scatter_to_blockediLj256ELj4ELj100EEvPKT0_PKjPS1_,"axG",@progbits,_Z6kernelI18scatter_to_blockediLj256ELj4ELj100EEvPKT0_PKjPS1_,comdat
.Lfunc_end123:
	.size	_Z6kernelI18scatter_to_blockediLj256ELj4ELj100EEvPKT0_PKjPS1_, .Lfunc_end123-_Z6kernelI18scatter_to_blockediLj256ELj4ELj100EEvPKT0_PKjPS1_
                                        ; -- End function
	.section	.AMDGPU.csdata,"",@progbits
; Kernel info:
; codeLenInByte = 384
; NumSgprs: 16
; NumVgprs: 15
; ScratchSize: 0
; MemoryBound: 0
; FloatMode: 240
; IeeeMode: 1
; LDSByteSize: 4224 bytes/workgroup (compile time only)
; SGPRBlocks: 1
; VGPRBlocks: 1
; NumSGPRsForWavesPerEU: 16
; NumVGPRsForWavesPerEU: 15
; Occupancy: 16
; WaveLimiterHint : 1
; COMPUTE_PGM_RSRC2:SCRATCH_EN: 0
; COMPUTE_PGM_RSRC2:USER_SGPR: 15
; COMPUTE_PGM_RSRC2:TRAP_HANDLER: 0
; COMPUTE_PGM_RSRC2:TGID_X_EN: 1
; COMPUTE_PGM_RSRC2:TGID_Y_EN: 0
; COMPUTE_PGM_RSRC2:TGID_Z_EN: 0
; COMPUTE_PGM_RSRC2:TIDIG_COMP_CNT: 0
	.section	.text._Z6kernelI18scatter_to_blockediLj256ELj7ELj100EEvPKT0_PKjPS1_,"axG",@progbits,_Z6kernelI18scatter_to_blockediLj256ELj7ELj100EEvPKT0_PKjPS1_,comdat
	.protected	_Z6kernelI18scatter_to_blockediLj256ELj7ELj100EEvPKT0_PKjPS1_ ; -- Begin function _Z6kernelI18scatter_to_blockediLj256ELj7ELj100EEvPKT0_PKjPS1_
	.globl	_Z6kernelI18scatter_to_blockediLj256ELj7ELj100EEvPKT0_PKjPS1_
	.p2align	8
	.type	_Z6kernelI18scatter_to_blockediLj256ELj7ELj100EEvPKT0_PKjPS1_,@function
_Z6kernelI18scatter_to_blockediLj256ELj7ELj100EEvPKT0_PKjPS1_: ; @_Z6kernelI18scatter_to_blockediLj256ELj7ELj100EEvPKT0_PKjPS1_
; %bb.0:
	s_load_b128 s[4:7], s[0:1], 0x0
	s_mov_b32 s3, 0
	s_mul_i32 s2, s15, 0x700
	v_lshlrev_b32_e32 v4, 2, v0
	s_lshl_b64 s[2:3], s[2:3], 2
	s_load_b64 s[0:1], s[0:1], 0x10
	v_mul_u32_u24_e32 v0, 7, v0
	s_delay_alu instid0(VALU_DEP_1)
	v_lshlrev_b32_e32 v0, 2, v0
	s_waitcnt lgkmcnt(0)
	s_add_u32 s4, s4, s2
	s_addc_u32 s5, s5, s3
	s_add_u32 s6, s6, s2
	v_add_co_u32 v3, s8, s4, v4
	s_delay_alu instid0(VALU_DEP_1) | instskip(SKIP_2) | instid1(VALU_DEP_1)
	v_add_co_ci_u32_e64 v5, null, s5, 0, s8
	s_addc_u32 s7, s7, s3
	v_add_co_u32 v1, s8, s6, v4
	v_add_co_ci_u32_e64 v2, null, s7, 0, s8
	s_clause 0x3
	global_load_b32 v9, v4, s[6:7]
	global_load_b32 v10, v4, s[6:7] offset:1024
	global_load_b32 v11, v4, s[6:7] offset:2048
	global_load_b32 v12, v4, s[6:7] offset:3072
	v_add_co_u32 v1, vcc_lo, 0x1000, v1
	v_add_co_ci_u32_e32 v2, vcc_lo, 0, v2, vcc_lo
	v_add_co_u32 v7, vcc_lo, 0x1000, v3
	v_add_co_ci_u32_e32 v8, vcc_lo, 0, v5, vcc_lo
	s_clause 0x2
	global_load_b32 v13, v[1:2], off
	global_load_b32 v14, v[1:2], off offset:1024
	global_load_b32 v15, v[1:2], off offset:2048
	s_clause 0x6
	global_load_b32 v1, v4, s[4:5]
	global_load_b32 v2, v4, s[4:5] offset:1024
	global_load_b32 v3, v4, s[4:5] offset:2048
	global_load_b32 v4, v4, s[4:5] offset:3072
	global_load_b32 v5, v[7:8], off
	global_load_b32 v6, v[7:8], off offset:1024
	global_load_b32 v7, v[7:8], off offset:2048
	s_movk_i32 s4, 0x64
	s_waitcnt vmcnt(13)
	v_lshlrev_b32_e32 v8, 2, v9
	s_waitcnt vmcnt(12)
	v_lshlrev_b32_e32 v9, 2, v10
	;; [unrolled: 2-line block ×7, first 2 shown]
	.p2align	6
.LBB124_1:                              ; =>This Inner Loop Header: Depth=1
	s_waitcnt vmcnt(6)
	ds_store_b32 v8, v1
	s_waitcnt vmcnt(5)
	ds_store_b32 v9, v2
	;; [unrolled: 2-line block ×7, first 2 shown]
	s_waitcnt lgkmcnt(0)
	s_barrier
	buffer_gl0_inv
	ds_load_2addr_b32 v[1:2], v0 offset1:1
	ds_load_2addr_b32 v[3:4], v0 offset0:2 offset1:3
	ds_load_2addr_b32 v[5:6], v0 offset0:4 offset1:5
	ds_load_b32 v7, v0 offset:24
	s_add_i32 s4, s4, -1
	s_waitcnt lgkmcnt(0)
	s_cmp_lg_u32 s4, 0
	s_barrier
	buffer_gl0_inv
	s_cbranch_scc1 .LBB124_1
; %bb.2:
	s_add_u32 s0, s0, s2
	s_addc_u32 s1, s1, s3
	s_clause 0x1
	global_store_b128 v0, v[1:4], s[0:1]
	global_store_b96 v0, v[5:7], s[0:1] offset:16
	s_nop 0
	s_sendmsg sendmsg(MSG_DEALLOC_VGPRS)
	s_endpgm
	.section	.rodata,"a",@progbits
	.p2align	6, 0x0
	.amdhsa_kernel _Z6kernelI18scatter_to_blockediLj256ELj7ELj100EEvPKT0_PKjPS1_
		.amdhsa_group_segment_fixed_size 7168
		.amdhsa_private_segment_fixed_size 0
		.amdhsa_kernarg_size 24
		.amdhsa_user_sgpr_count 15
		.amdhsa_user_sgpr_dispatch_ptr 0
		.amdhsa_user_sgpr_queue_ptr 0
		.amdhsa_user_sgpr_kernarg_segment_ptr 1
		.amdhsa_user_sgpr_dispatch_id 0
		.amdhsa_user_sgpr_private_segment_size 0
		.amdhsa_wavefront_size32 1
		.amdhsa_uses_dynamic_stack 0
		.amdhsa_enable_private_segment 0
		.amdhsa_system_sgpr_workgroup_id_x 1
		.amdhsa_system_sgpr_workgroup_id_y 0
		.amdhsa_system_sgpr_workgroup_id_z 0
		.amdhsa_system_sgpr_workgroup_info 0
		.amdhsa_system_vgpr_workitem_id 0
		.amdhsa_next_free_vgpr 16
		.amdhsa_next_free_sgpr 16
		.amdhsa_reserve_vcc 1
		.amdhsa_float_round_mode_32 0
		.amdhsa_float_round_mode_16_64 0
		.amdhsa_float_denorm_mode_32 3
		.amdhsa_float_denorm_mode_16_64 3
		.amdhsa_dx10_clamp 1
		.amdhsa_ieee_mode 1
		.amdhsa_fp16_overflow 0
		.amdhsa_workgroup_processor_mode 1
		.amdhsa_memory_ordered 1
		.amdhsa_forward_progress 0
		.amdhsa_shared_vgpr_count 0
		.amdhsa_exception_fp_ieee_invalid_op 0
		.amdhsa_exception_fp_denorm_src 0
		.amdhsa_exception_fp_ieee_div_zero 0
		.amdhsa_exception_fp_ieee_overflow 0
		.amdhsa_exception_fp_ieee_underflow 0
		.amdhsa_exception_fp_ieee_inexact 0
		.amdhsa_exception_int_div_zero 0
	.end_amdhsa_kernel
	.section	.text._Z6kernelI18scatter_to_blockediLj256ELj7ELj100EEvPKT0_PKjPS1_,"axG",@progbits,_Z6kernelI18scatter_to_blockediLj256ELj7ELj100EEvPKT0_PKjPS1_,comdat
.Lfunc_end124:
	.size	_Z6kernelI18scatter_to_blockediLj256ELj7ELj100EEvPKT0_PKjPS1_, .Lfunc_end124-_Z6kernelI18scatter_to_blockediLj256ELj7ELj100EEvPKT0_PKjPS1_
                                        ; -- End function
	.section	.AMDGPU.csdata,"",@progbits
; Kernel info:
; codeLenInByte = 520
; NumSgprs: 18
; NumVgprs: 16
; ScratchSize: 0
; MemoryBound: 0
; FloatMode: 240
; IeeeMode: 1
; LDSByteSize: 7168 bytes/workgroup (compile time only)
; SGPRBlocks: 2
; VGPRBlocks: 1
; NumSGPRsForWavesPerEU: 18
; NumVGPRsForWavesPerEU: 16
; Occupancy: 16
; WaveLimiterHint : 1
; COMPUTE_PGM_RSRC2:SCRATCH_EN: 0
; COMPUTE_PGM_RSRC2:USER_SGPR: 15
; COMPUTE_PGM_RSRC2:TRAP_HANDLER: 0
; COMPUTE_PGM_RSRC2:TGID_X_EN: 1
; COMPUTE_PGM_RSRC2:TGID_Y_EN: 0
; COMPUTE_PGM_RSRC2:TGID_Z_EN: 0
; COMPUTE_PGM_RSRC2:TIDIG_COMP_CNT: 0
	.section	.text._Z6kernelI18scatter_to_blockediLj256ELj8ELj100EEvPKT0_PKjPS1_,"axG",@progbits,_Z6kernelI18scatter_to_blockediLj256ELj8ELj100EEvPKT0_PKjPS1_,comdat
	.protected	_Z6kernelI18scatter_to_blockediLj256ELj8ELj100EEvPKT0_PKjPS1_ ; -- Begin function _Z6kernelI18scatter_to_blockediLj256ELj8ELj100EEvPKT0_PKjPS1_
	.globl	_Z6kernelI18scatter_to_blockediLj256ELj8ELj100EEvPKT0_PKjPS1_
	.p2align	8
	.type	_Z6kernelI18scatter_to_blockediLj256ELj8ELj100EEvPKT0_PKjPS1_,@function
_Z6kernelI18scatter_to_blockediLj256ELj8ELj100EEvPKT0_PKjPS1_: ; @_Z6kernelI18scatter_to_blockediLj256ELj8ELj100EEvPKT0_PKjPS1_
; %bb.0:
	s_load_b128 s[4:7], s[0:1], 0x0
	s_mov_b32 s3, 0
	s_lshl_b32 s2, s15, 11
	v_lshlrev_b32_e32 v3, 2, v0
	s_lshl_b64 s[2:3], s[2:3], 2
	s_load_b64 s[0:1], s[0:1], 0x10
	v_lshrrev_b32_e32 v22, 2, v0
	s_waitcnt lgkmcnt(0)
	s_add_u32 s4, s4, s2
	s_addc_u32 s5, s5, s3
	s_add_u32 s6, s6, s2
	s_addc_u32 s7, s7, s3
	v_add_co_u32 v1, s8, s6, v3
	s_delay_alu instid0(VALU_DEP_1)
	v_add_co_ci_u32_e64 v2, null, s7, 0, s8
	s_clause 0x3
	global_load_b32 v11, v3, s[6:7]
	global_load_b32 v12, v3, s[6:7] offset:1024
	global_load_b32 v13, v3, s[6:7] offset:2048
	;; [unrolled: 1-line block ×3, first 2 shown]
	v_add_co_u32 v1, vcc_lo, 0x1000, v1
	v_add_co_ci_u32_e32 v2, vcc_lo, 0, v2, vcc_lo
	s_clause 0x3
	global_load_b32 v15, v[1:2], off
	global_load_b32 v16, v[1:2], off offset:1024
	global_load_b32 v17, v[1:2], off offset:2048
	;; [unrolled: 1-line block ×3, first 2 shown]
	v_add_co_u32 v1, s6, s4, v3
	s_delay_alu instid0(VALU_DEP_1) | instskip(NEXT) | instid1(VALU_DEP_2)
	v_add_co_ci_u32_e64 v2, null, s5, 0, s6
	v_add_co_u32 v9, vcc_lo, 0x1000, v1
	s_delay_alu instid0(VALU_DEP_2)
	v_add_co_ci_u32_e32 v10, vcc_lo, 0, v2, vcc_lo
	s_clause 0x7
	global_load_b32 v5, v3, s[4:5]
	global_load_b32 v6, v3, s[4:5] offset:1024
	global_load_b32 v7, v3, s[4:5] offset:2048
	;; [unrolled: 1-line block ×3, first 2 shown]
	global_load_b32 v1, v[9:10], off
	global_load_b32 v2, v[9:10], off offset:1024
	global_load_b32 v3, v[9:10], off offset:2048
	;; [unrolled: 1-line block ×3, first 2 shown]
	v_lshlrev_b32_e32 v9, 3, v0
	s_movk_i32 s4, 0x64
	s_waitcnt vmcnt(15)
	v_lshrrev_b32_e32 v10, 3, v11
	s_waitcnt vmcnt(14)
	v_lshrrev_b32_e32 v19, 3, v12
	;; [unrolled: 2-line block ×4, first 2 shown]
	v_and_b32_e32 v10, 0x1ffffffc, v10
	v_and_b32_e32 v19, 0x1ffffffc, v19
	v_and_b32_e32 v20, 0x1ffffffc, v20
	s_delay_alu instid0(VALU_DEP_4) | instskip(NEXT) | instid1(VALU_DEP_4)
	v_and_b32_e32 v21, 0x1ffffffc, v21
	v_lshl_add_u32 v0, v11, 2, v10
	s_delay_alu instid0(VALU_DEP_4)
	v_lshl_add_u32 v10, v12, 2, v19
	s_waitcnt vmcnt(11)
	v_lshrrev_b32_e32 v12, 3, v15
	s_waitcnt vmcnt(10)
	v_lshrrev_b32_e32 v19, 3, v16
	;; [unrolled: 2-line block ×4, first 2 shown]
	v_lshl_add_u32 v11, v13, 2, v20
	v_and_b32_e32 v13, 0x1ffffffc, v12
	v_and_b32_e32 v19, 0x1ffffffc, v19
	;; [unrolled: 1-line block ×4, first 2 shown]
	v_lshl_add_u32 v12, v14, 2, v21
	v_lshl_add_u32 v13, v15, 2, v13
	;; [unrolled: 1-line block ×5, first 2 shown]
	v_add_lshl_u32 v17, v22, v9, 2
	.p2align	6
.LBB125_1:                              ; =>This Inner Loop Header: Depth=1
	s_waitcnt vmcnt(7)
	ds_store_b32 v0, v5
	s_waitcnt vmcnt(6)
	ds_store_b32 v10, v6
	;; [unrolled: 2-line block ×8, first 2 shown]
	s_waitcnt lgkmcnt(0)
	s_barrier
	buffer_gl0_inv
	ds_load_2addr_b32 v[5:6], v17 offset1:1
	ds_load_2addr_b32 v[7:8], v17 offset0:2 offset1:3
	ds_load_2addr_b32 v[1:2], v17 offset0:4 offset1:5
	;; [unrolled: 1-line block ×3, first 2 shown]
	s_add_i32 s4, s4, -1
	s_waitcnt lgkmcnt(0)
	s_cmp_lg_u32 s4, 0
	s_barrier
	buffer_gl0_inv
	s_cbranch_scc1 .LBB125_1
; %bb.2:
	v_lshlrev_b32_e32 v0, 2, v9
	s_add_u32 s0, s0, s2
	s_addc_u32 s1, s1, s3
	s_clause 0x1
	global_store_b128 v0, v[5:8], s[0:1]
	global_store_b128 v0, v[1:4], s[0:1] offset:16
	s_nop 0
	s_sendmsg sendmsg(MSG_DEALLOC_VGPRS)
	s_endpgm
	.section	.rodata,"a",@progbits
	.p2align	6, 0x0
	.amdhsa_kernel _Z6kernelI18scatter_to_blockediLj256ELj8ELj100EEvPKT0_PKjPS1_
		.amdhsa_group_segment_fixed_size 8448
		.amdhsa_private_segment_fixed_size 0
		.amdhsa_kernarg_size 24
		.amdhsa_user_sgpr_count 15
		.amdhsa_user_sgpr_dispatch_ptr 0
		.amdhsa_user_sgpr_queue_ptr 0
		.amdhsa_user_sgpr_kernarg_segment_ptr 1
		.amdhsa_user_sgpr_dispatch_id 0
		.amdhsa_user_sgpr_private_segment_size 0
		.amdhsa_wavefront_size32 1
		.amdhsa_uses_dynamic_stack 0
		.amdhsa_enable_private_segment 0
		.amdhsa_system_sgpr_workgroup_id_x 1
		.amdhsa_system_sgpr_workgroup_id_y 0
		.amdhsa_system_sgpr_workgroup_id_z 0
		.amdhsa_system_sgpr_workgroup_info 0
		.amdhsa_system_vgpr_workitem_id 0
		.amdhsa_next_free_vgpr 25
		.amdhsa_next_free_sgpr 16
		.amdhsa_reserve_vcc 1
		.amdhsa_float_round_mode_32 0
		.amdhsa_float_round_mode_16_64 0
		.amdhsa_float_denorm_mode_32 3
		.amdhsa_float_denorm_mode_16_64 3
		.amdhsa_dx10_clamp 1
		.amdhsa_ieee_mode 1
		.amdhsa_fp16_overflow 0
		.amdhsa_workgroup_processor_mode 1
		.amdhsa_memory_ordered 1
		.amdhsa_forward_progress 0
		.amdhsa_shared_vgpr_count 0
		.amdhsa_exception_fp_ieee_invalid_op 0
		.amdhsa_exception_fp_denorm_src 0
		.amdhsa_exception_fp_ieee_div_zero 0
		.amdhsa_exception_fp_ieee_overflow 0
		.amdhsa_exception_fp_ieee_underflow 0
		.amdhsa_exception_fp_ieee_inexact 0
		.amdhsa_exception_int_div_zero 0
	.end_amdhsa_kernel
	.section	.text._Z6kernelI18scatter_to_blockediLj256ELj8ELj100EEvPKT0_PKjPS1_,"axG",@progbits,_Z6kernelI18scatter_to_blockediLj256ELj8ELj100EEvPKT0_PKjPS1_,comdat
.Lfunc_end125:
	.size	_Z6kernelI18scatter_to_blockediLj256ELj8ELj100EEvPKT0_PKjPS1_, .Lfunc_end125-_Z6kernelI18scatter_to_blockediLj256ELj8ELj100EEvPKT0_PKjPS1_
                                        ; -- End function
	.section	.AMDGPU.csdata,"",@progbits
; Kernel info:
; codeLenInByte = 704
; NumSgprs: 18
; NumVgprs: 25
; ScratchSize: 0
; MemoryBound: 0
; FloatMode: 240
; IeeeMode: 1
; LDSByteSize: 8448 bytes/workgroup (compile time only)
; SGPRBlocks: 2
; VGPRBlocks: 3
; NumSGPRsForWavesPerEU: 18
; NumVGPRsForWavesPerEU: 25
; Occupancy: 16
; WaveLimiterHint : 1
; COMPUTE_PGM_RSRC2:SCRATCH_EN: 0
; COMPUTE_PGM_RSRC2:USER_SGPR: 15
; COMPUTE_PGM_RSRC2:TRAP_HANDLER: 0
; COMPUTE_PGM_RSRC2:TGID_X_EN: 1
; COMPUTE_PGM_RSRC2:TGID_Y_EN: 0
; COMPUTE_PGM_RSRC2:TGID_Z_EN: 0
; COMPUTE_PGM_RSRC2:TIDIG_COMP_CNT: 0
	.section	.text._Z6kernelI18scatter_to_blockedaLj256ELj1ELj100EEvPKT0_PKjPS1_,"axG",@progbits,_Z6kernelI18scatter_to_blockedaLj256ELj1ELj100EEvPKT0_PKjPS1_,comdat
	.protected	_Z6kernelI18scatter_to_blockedaLj256ELj1ELj100EEvPKT0_PKjPS1_ ; -- Begin function _Z6kernelI18scatter_to_blockedaLj256ELj1ELj100EEvPKT0_PKjPS1_
	.globl	_Z6kernelI18scatter_to_blockedaLj256ELj1ELj100EEvPKT0_PKjPS1_
	.p2align	8
	.type	_Z6kernelI18scatter_to_blockedaLj256ELj1ELj100EEvPKT0_PKjPS1_,@function
_Z6kernelI18scatter_to_blockedaLj256ELj1ELj100EEvPKT0_PKjPS1_: ; @_Z6kernelI18scatter_to_blockedaLj256ELj1ELj100EEvPKT0_PKjPS1_
; %bb.0:
	s_load_b128 s[4:7], s[0:1], 0x0
	s_lshl_b32 s2, s15, 8
	s_mov_b32 s3, 0
	v_lshlrev_b32_e32 v2, 2, v0
	s_load_b64 s[0:1], s[0:1], 0x10
	s_waitcnt lgkmcnt(0)
	s_add_u32 s4, s4, s2
	s_addc_u32 s5, s5, 0
	s_lshl_b64 s[8:9], s[2:3], 2
	s_movk_i32 s3, 0x64
	s_add_u32 s6, s6, s8
	s_addc_u32 s7, s7, s9
	global_load_u8 v1, v0, s[4:5]
	global_load_b32 v2, v2, s[6:7]
.LBB126_1:                              ; =>This Inner Loop Header: Depth=1
	s_waitcnt vmcnt(0)
	ds_store_b8 v2, v1
	s_waitcnt lgkmcnt(0)
	s_barrier
	buffer_gl0_inv
	ds_load_u8 v1, v0
	s_add_i32 s3, s3, -1
	s_waitcnt lgkmcnt(0)
	s_cmp_lg_u32 s3, 0
	s_barrier
	buffer_gl0_inv
	s_cbranch_scc1 .LBB126_1
; %bb.2:
	s_add_u32 s0, s0, s2
	s_addc_u32 s1, s1, 0
	v_add_co_u32 v2, s0, s0, v0
	s_delay_alu instid0(VALU_DEP_1)
	v_add_co_ci_u32_e64 v3, null, s1, 0, s0
	global_store_b8 v[2:3], v1, off
	s_nop 0
	s_sendmsg sendmsg(MSG_DEALLOC_VGPRS)
	s_endpgm
	.section	.rodata,"a",@progbits
	.p2align	6, 0x0
	.amdhsa_kernel _Z6kernelI18scatter_to_blockedaLj256ELj1ELj100EEvPKT0_PKjPS1_
		.amdhsa_group_segment_fixed_size 256
		.amdhsa_private_segment_fixed_size 0
		.amdhsa_kernarg_size 24
		.amdhsa_user_sgpr_count 15
		.amdhsa_user_sgpr_dispatch_ptr 0
		.amdhsa_user_sgpr_queue_ptr 0
		.amdhsa_user_sgpr_kernarg_segment_ptr 1
		.amdhsa_user_sgpr_dispatch_id 0
		.amdhsa_user_sgpr_private_segment_size 0
		.amdhsa_wavefront_size32 1
		.amdhsa_uses_dynamic_stack 0
		.amdhsa_enable_private_segment 0
		.amdhsa_system_sgpr_workgroup_id_x 1
		.amdhsa_system_sgpr_workgroup_id_y 0
		.amdhsa_system_sgpr_workgroup_id_z 0
		.amdhsa_system_sgpr_workgroup_info 0
		.amdhsa_system_vgpr_workitem_id 0
		.amdhsa_next_free_vgpr 4
		.amdhsa_next_free_sgpr 16
		.amdhsa_reserve_vcc 0
		.amdhsa_float_round_mode_32 0
		.amdhsa_float_round_mode_16_64 0
		.amdhsa_float_denorm_mode_32 3
		.amdhsa_float_denorm_mode_16_64 3
		.amdhsa_dx10_clamp 1
		.amdhsa_ieee_mode 1
		.amdhsa_fp16_overflow 0
		.amdhsa_workgroup_processor_mode 1
		.amdhsa_memory_ordered 1
		.amdhsa_forward_progress 0
		.amdhsa_shared_vgpr_count 0
		.amdhsa_exception_fp_ieee_invalid_op 0
		.amdhsa_exception_fp_denorm_src 0
		.amdhsa_exception_fp_ieee_div_zero 0
		.amdhsa_exception_fp_ieee_overflow 0
		.amdhsa_exception_fp_ieee_underflow 0
		.amdhsa_exception_fp_ieee_inexact 0
		.amdhsa_exception_int_div_zero 0
	.end_amdhsa_kernel
	.section	.text._Z6kernelI18scatter_to_blockedaLj256ELj1ELj100EEvPKT0_PKjPS1_,"axG",@progbits,_Z6kernelI18scatter_to_blockedaLj256ELj1ELj100EEvPKT0_PKjPS1_,comdat
.Lfunc_end126:
	.size	_Z6kernelI18scatter_to_blockedaLj256ELj1ELj100EEvPKT0_PKjPS1_, .Lfunc_end126-_Z6kernelI18scatter_to_blockedaLj256ELj1ELj100EEvPKT0_PKjPS1_
                                        ; -- End function
	.section	.AMDGPU.csdata,"",@progbits
; Kernel info:
; codeLenInByte = 184
; NumSgprs: 16
; NumVgprs: 4
; ScratchSize: 0
; MemoryBound: 0
; FloatMode: 240
; IeeeMode: 1
; LDSByteSize: 256 bytes/workgroup (compile time only)
; SGPRBlocks: 1
; VGPRBlocks: 0
; NumSGPRsForWavesPerEU: 16
; NumVGPRsForWavesPerEU: 4
; Occupancy: 16
; WaveLimiterHint : 0
; COMPUTE_PGM_RSRC2:SCRATCH_EN: 0
; COMPUTE_PGM_RSRC2:USER_SGPR: 15
; COMPUTE_PGM_RSRC2:TRAP_HANDLER: 0
; COMPUTE_PGM_RSRC2:TGID_X_EN: 1
; COMPUTE_PGM_RSRC2:TGID_Y_EN: 0
; COMPUTE_PGM_RSRC2:TGID_Z_EN: 0
; COMPUTE_PGM_RSRC2:TIDIG_COMP_CNT: 0
	.section	.text._Z6kernelI18scatter_to_blockedaLj256ELj2ELj100EEvPKT0_PKjPS1_,"axG",@progbits,_Z6kernelI18scatter_to_blockedaLj256ELj2ELj100EEvPKT0_PKjPS1_,comdat
	.protected	_Z6kernelI18scatter_to_blockedaLj256ELj2ELj100EEvPKT0_PKjPS1_ ; -- Begin function _Z6kernelI18scatter_to_blockedaLj256ELj2ELj100EEvPKT0_PKjPS1_
	.globl	_Z6kernelI18scatter_to_blockedaLj256ELj2ELj100EEvPKT0_PKjPS1_
	.p2align	8
	.type	_Z6kernelI18scatter_to_blockedaLj256ELj2ELj100EEvPKT0_PKjPS1_,@function
_Z6kernelI18scatter_to_blockedaLj256ELj2ELj100EEvPKT0_PKjPS1_: ; @_Z6kernelI18scatter_to_blockedaLj256ELj2ELj100EEvPKT0_PKjPS1_
; %bb.0:
	s_load_b128 s[4:7], s[0:1], 0x0
	s_lshl_b32 s2, s15, 9
	s_mov_b32 s3, 0
	v_lshlrev_b32_e32 v1, 2, v0
	s_load_b64 s[0:1], s[0:1], 0x10
	v_lshrrev_b32_e32 v5, 4, v0
	s_delay_alu instid0(VALU_DEP_1)
	v_and_b32_e32 v5, 12, v5
	s_waitcnt lgkmcnt(0)
	s_add_u32 s4, s4, s2
	s_addc_u32 s5, s5, 0
	s_lshl_b64 s[8:9], s[2:3], 2
	s_movk_i32 s3, 0x64
	s_add_u32 s6, s6, s8
	s_addc_u32 s7, s7, s9
	global_load_u8 v2, v0, s[4:5] offset:256
	s_clause 0x1
	global_load_b32 v3, v1, s[6:7]
	global_load_b32 v4, v1, s[6:7] offset:1024
	global_load_u8 v1, v0, s[4:5]
	v_lshlrev_b32_e32 v0, 1, v0
	s_waitcnt vmcnt(3)
	v_lshlrev_b16 v2, 8, v2
	s_waitcnt vmcnt(2)
	v_lshrrev_b32_e32 v6, 5, v3
	s_waitcnt vmcnt(1)
	v_lshrrev_b32_e32 v7, 5, v4
	s_waitcnt vmcnt(0)
	v_or_b32_e32 v1, v1, v2
	v_and_b32_e32 v6, 0x7fffffc, v6
	s_delay_alu instid0(VALU_DEP_3) | instskip(SKIP_1) | instid1(VALU_DEP_4)
	v_and_b32_e32 v7, 0x7fffffc, v7
	v_add_nc_u32_e32 v2, v5, v0
	v_and_b32_e32 v1, 0xffff, v1
	s_delay_alu instid0(VALU_DEP_4) | instskip(NEXT) | instid1(VALU_DEP_4)
	v_add_nc_u32_e32 v3, v6, v3
	v_add_nc_u32_e32 v4, v7, v4
.LBB127_1:                              ; =>This Inner Loop Header: Depth=1
	s_delay_alu instid0(VALU_DEP_3)
	v_lshrrev_b16 v5, 8, v1
	s_add_i32 s3, s3, -1
	ds_store_b8 v3, v1
	ds_store_b8 v4, v5
	s_waitcnt lgkmcnt(0)
	s_barrier
	buffer_gl0_inv
	ds_load_u16 v1, v2
	s_cmp_lg_u32 s3, 0
	s_waitcnt lgkmcnt(0)
	s_barrier
	buffer_gl0_inv
	s_cbranch_scc1 .LBB127_1
; %bb.2:
	v_lshrrev_b16 v2, 8, v1
	v_and_b32_e32 v1, 0xff, v1
	s_add_u32 s0, s0, s2
	s_addc_u32 s1, s1, 0
	s_delay_alu instid0(VALU_DEP_2) | instskip(NEXT) | instid1(VALU_DEP_1)
	v_lshlrev_b16 v2, 8, v2
	v_or_b32_e32 v1, v1, v2
	global_store_b16 v0, v1, s[0:1]
	s_nop 0
	s_sendmsg sendmsg(MSG_DEALLOC_VGPRS)
	s_endpgm
	.section	.rodata,"a",@progbits
	.p2align	6, 0x0
	.amdhsa_kernel _Z6kernelI18scatter_to_blockedaLj256ELj2ELj100EEvPKT0_PKjPS1_
		.amdhsa_group_segment_fixed_size 528
		.amdhsa_private_segment_fixed_size 0
		.amdhsa_kernarg_size 24
		.amdhsa_user_sgpr_count 15
		.amdhsa_user_sgpr_dispatch_ptr 0
		.amdhsa_user_sgpr_queue_ptr 0
		.amdhsa_user_sgpr_kernarg_segment_ptr 1
		.amdhsa_user_sgpr_dispatch_id 0
		.amdhsa_user_sgpr_private_segment_size 0
		.amdhsa_wavefront_size32 1
		.amdhsa_uses_dynamic_stack 0
		.amdhsa_enable_private_segment 0
		.amdhsa_system_sgpr_workgroup_id_x 1
		.amdhsa_system_sgpr_workgroup_id_y 0
		.amdhsa_system_sgpr_workgroup_id_z 0
		.amdhsa_system_sgpr_workgroup_info 0
		.amdhsa_system_vgpr_workitem_id 0
		.amdhsa_next_free_vgpr 8
		.amdhsa_next_free_sgpr 16
		.amdhsa_reserve_vcc 0
		.amdhsa_float_round_mode_32 0
		.amdhsa_float_round_mode_16_64 0
		.amdhsa_float_denorm_mode_32 3
		.amdhsa_float_denorm_mode_16_64 3
		.amdhsa_dx10_clamp 1
		.amdhsa_ieee_mode 1
		.amdhsa_fp16_overflow 0
		.amdhsa_workgroup_processor_mode 1
		.amdhsa_memory_ordered 1
		.amdhsa_forward_progress 0
		.amdhsa_shared_vgpr_count 0
		.amdhsa_exception_fp_ieee_invalid_op 0
		.amdhsa_exception_fp_denorm_src 0
		.amdhsa_exception_fp_ieee_div_zero 0
		.amdhsa_exception_fp_ieee_overflow 0
		.amdhsa_exception_fp_ieee_underflow 0
		.amdhsa_exception_fp_ieee_inexact 0
		.amdhsa_exception_int_div_zero 0
	.end_amdhsa_kernel
	.section	.text._Z6kernelI18scatter_to_blockedaLj256ELj2ELj100EEvPKT0_PKjPS1_,"axG",@progbits,_Z6kernelI18scatter_to_blockedaLj256ELj2ELj100EEvPKT0_PKjPS1_,comdat
.Lfunc_end127:
	.size	_Z6kernelI18scatter_to_blockedaLj256ELj2ELj100EEvPKT0_PKjPS1_, .Lfunc_end127-_Z6kernelI18scatter_to_blockedaLj256ELj2ELj100EEvPKT0_PKjPS1_
                                        ; -- End function
	.section	.AMDGPU.csdata,"",@progbits
; Kernel info:
; codeLenInByte = 328
; NumSgprs: 16
; NumVgprs: 8
; ScratchSize: 0
; MemoryBound: 0
; FloatMode: 240
; IeeeMode: 1
; LDSByteSize: 528 bytes/workgroup (compile time only)
; SGPRBlocks: 1
; VGPRBlocks: 0
; NumSGPRsForWavesPerEU: 16
; NumVGPRsForWavesPerEU: 8
; Occupancy: 16
; WaveLimiterHint : 1
; COMPUTE_PGM_RSRC2:SCRATCH_EN: 0
; COMPUTE_PGM_RSRC2:USER_SGPR: 15
; COMPUTE_PGM_RSRC2:TRAP_HANDLER: 0
; COMPUTE_PGM_RSRC2:TGID_X_EN: 1
; COMPUTE_PGM_RSRC2:TGID_Y_EN: 0
; COMPUTE_PGM_RSRC2:TGID_Z_EN: 0
; COMPUTE_PGM_RSRC2:TIDIG_COMP_CNT: 0
	.section	.text._Z6kernelI18scatter_to_blockedaLj256ELj3ELj100EEvPKT0_PKjPS1_,"axG",@progbits,_Z6kernelI18scatter_to_blockedaLj256ELj3ELj100EEvPKT0_PKjPS1_,comdat
	.protected	_Z6kernelI18scatter_to_blockedaLj256ELj3ELj100EEvPKT0_PKjPS1_ ; -- Begin function _Z6kernelI18scatter_to_blockedaLj256ELj3ELj100EEvPKT0_PKjPS1_
	.globl	_Z6kernelI18scatter_to_blockedaLj256ELj3ELj100EEvPKT0_PKjPS1_
	.p2align	8
	.type	_Z6kernelI18scatter_to_blockedaLj256ELj3ELj100EEvPKT0_PKjPS1_,@function
_Z6kernelI18scatter_to_blockedaLj256ELj3ELj100EEvPKT0_PKjPS1_: ; @_Z6kernelI18scatter_to_blockedaLj256ELj3ELj100EEvPKT0_PKjPS1_
; %bb.0:
	s_load_b128 s[4:7], s[0:1], 0x0
	s_mul_i32 s2, s15, 0x300
	s_mov_b32 s3, 0
	v_lshlrev_b32_e32 v3, 2, v0
	s_load_b64 s[0:1], s[0:1], 0x10
	s_waitcnt lgkmcnt(0)
	s_add_u32 s4, s4, s2
	s_addc_u32 s5, s5, 0
	s_lshl_b64 s[8:9], s[2:3], 2
	s_clause 0x2
	global_load_u8 v4, v0, s[4:5] offset:256
	global_load_u8 v5, v0, s[4:5]
	global_load_u8 v6, v0, s[4:5] offset:512
	s_add_u32 s4, s6, s8
	s_addc_u32 s5, s7, s9
	s_clause 0x2
	global_load_b32 v1, v3, s[4:5]
	global_load_b32 v2, v3, s[4:5] offset:1024
	global_load_b32 v3, v3, s[4:5] offset:2048
	v_mul_u32_u24_e32 v0, 3, v0
	s_movk_i32 s3, 0x64
	s_waitcnt vmcnt(5)
	v_lshlrev_b16 v4, 8, v4
	s_waitcnt vmcnt(4)
	s_delay_alu instid0(VALU_DEP_1) | instskip(NEXT) | instid1(VALU_DEP_1)
	v_or_b32_e32 v4, v5, v4
	v_and_b32_e32 v4, 0xffff, v4
	s_waitcnt vmcnt(3)
	s_delay_alu instid0(VALU_DEP_1)
	v_lshl_or_b32 v4, v6, 16, v4
	.p2align	6
.LBB128_1:                              ; =>This Inner Loop Header: Depth=1
	s_delay_alu instid0(VALU_DEP_1)
	v_lshrrev_b32_e32 v5, 8, v4
	s_add_i32 s3, s3, -1
	s_waitcnt vmcnt(2)
	ds_store_b8 v1, v4
	s_waitcnt vmcnt(1)
	ds_store_b8 v2, v5
	s_waitcnt vmcnt(0)
	ds_store_b8_d16_hi v3, v4
	s_waitcnt lgkmcnt(0)
	s_barrier
	buffer_gl0_inv
	ds_load_u8 v4, v0 offset:1
	ds_load_u8 v6, v0
	ds_load_u8 v5, v0 offset:2
	s_cmp_lg_u32 s3, 0
	s_waitcnt lgkmcnt(0)
	s_barrier
	buffer_gl0_inv
	v_lshlrev_b16 v4, 8, v4
	s_delay_alu instid0(VALU_DEP_1) | instskip(SKIP_1) | instid1(VALU_DEP_2)
	v_or_b32_e32 v6, v6, v4
	v_lshlrev_b32_e32 v4, 16, v5
	v_and_b32_e32 v7, 0xffff, v6
	s_delay_alu instid0(VALU_DEP_1)
	v_or_b32_e32 v4, v7, v4
	s_cbranch_scc1 .LBB128_1
; %bb.2:
	s_add_u32 s0, s0, s2
	s_addc_u32 s1, s1, 0
	s_clause 0x1
	global_store_b8 v0, v5, s[0:1] offset:2
	global_store_b16 v0, v6, s[0:1]
	s_nop 0
	s_sendmsg sendmsg(MSG_DEALLOC_VGPRS)
	s_endpgm
	.section	.rodata,"a",@progbits
	.p2align	6, 0x0
	.amdhsa_kernel _Z6kernelI18scatter_to_blockedaLj256ELj3ELj100EEvPKT0_PKjPS1_
		.amdhsa_group_segment_fixed_size 768
		.amdhsa_private_segment_fixed_size 0
		.amdhsa_kernarg_size 24
		.amdhsa_user_sgpr_count 15
		.amdhsa_user_sgpr_dispatch_ptr 0
		.amdhsa_user_sgpr_queue_ptr 0
		.amdhsa_user_sgpr_kernarg_segment_ptr 1
		.amdhsa_user_sgpr_dispatch_id 0
		.amdhsa_user_sgpr_private_segment_size 0
		.amdhsa_wavefront_size32 1
		.amdhsa_uses_dynamic_stack 0
		.amdhsa_enable_private_segment 0
		.amdhsa_system_sgpr_workgroup_id_x 1
		.amdhsa_system_sgpr_workgroup_id_y 0
		.amdhsa_system_sgpr_workgroup_id_z 0
		.amdhsa_system_sgpr_workgroup_info 0
		.amdhsa_system_vgpr_workitem_id 0
		.amdhsa_next_free_vgpr 8
		.amdhsa_next_free_sgpr 16
		.amdhsa_reserve_vcc 0
		.amdhsa_float_round_mode_32 0
		.amdhsa_float_round_mode_16_64 0
		.amdhsa_float_denorm_mode_32 3
		.amdhsa_float_denorm_mode_16_64 3
		.amdhsa_dx10_clamp 1
		.amdhsa_ieee_mode 1
		.amdhsa_fp16_overflow 0
		.amdhsa_workgroup_processor_mode 1
		.amdhsa_memory_ordered 1
		.amdhsa_forward_progress 0
		.amdhsa_shared_vgpr_count 0
		.amdhsa_exception_fp_ieee_invalid_op 0
		.amdhsa_exception_fp_denorm_src 0
		.amdhsa_exception_fp_ieee_div_zero 0
		.amdhsa_exception_fp_ieee_overflow 0
		.amdhsa_exception_fp_ieee_underflow 0
		.amdhsa_exception_fp_ieee_inexact 0
		.amdhsa_exception_int_div_zero 0
	.end_amdhsa_kernel
	.section	.text._Z6kernelI18scatter_to_blockedaLj256ELj3ELj100EEvPKT0_PKjPS1_,"axG",@progbits,_Z6kernelI18scatter_to_blockedaLj256ELj3ELj100EEvPKT0_PKjPS1_,comdat
.Lfunc_end128:
	.size	_Z6kernelI18scatter_to_blockedaLj256ELj3ELj100EEvPKT0_PKjPS1_, .Lfunc_end128-_Z6kernelI18scatter_to_blockedaLj256ELj3ELj100EEvPKT0_PKjPS1_
                                        ; -- End function
	.section	.AMDGPU.csdata,"",@progbits
; Kernel info:
; codeLenInByte = 356
; NumSgprs: 16
; NumVgprs: 8
; ScratchSize: 0
; MemoryBound: 0
; FloatMode: 240
; IeeeMode: 1
; LDSByteSize: 768 bytes/workgroup (compile time only)
; SGPRBlocks: 1
; VGPRBlocks: 0
; NumSGPRsForWavesPerEU: 16
; NumVGPRsForWavesPerEU: 8
; Occupancy: 16
; WaveLimiterHint : 1
; COMPUTE_PGM_RSRC2:SCRATCH_EN: 0
; COMPUTE_PGM_RSRC2:USER_SGPR: 15
; COMPUTE_PGM_RSRC2:TRAP_HANDLER: 0
; COMPUTE_PGM_RSRC2:TGID_X_EN: 1
; COMPUTE_PGM_RSRC2:TGID_Y_EN: 0
; COMPUTE_PGM_RSRC2:TGID_Z_EN: 0
; COMPUTE_PGM_RSRC2:TIDIG_COMP_CNT: 0
	.section	.text._Z6kernelI18scatter_to_blockedaLj256ELj4ELj100EEvPKT0_PKjPS1_,"axG",@progbits,_Z6kernelI18scatter_to_blockedaLj256ELj4ELj100EEvPKT0_PKjPS1_,comdat
	.protected	_Z6kernelI18scatter_to_blockedaLj256ELj4ELj100EEvPKT0_PKjPS1_ ; -- Begin function _Z6kernelI18scatter_to_blockedaLj256ELj4ELj100EEvPKT0_PKjPS1_
	.globl	_Z6kernelI18scatter_to_blockedaLj256ELj4ELj100EEvPKT0_PKjPS1_
	.p2align	8
	.type	_Z6kernelI18scatter_to_blockedaLj256ELj4ELj100EEvPKT0_PKjPS1_,@function
_Z6kernelI18scatter_to_blockedaLj256ELj4ELj100EEvPKT0_PKjPS1_: ; @_Z6kernelI18scatter_to_blockedaLj256ELj4ELj100EEvPKT0_PKjPS1_
; %bb.0:
	s_load_b128 s[4:7], s[0:1], 0x0
	s_lshl_b32 s2, s15, 10
	s_mov_b32 s3, 0
	v_lshlrev_b32_e32 v1, 2, v0
	s_load_b64 s[0:1], s[0:1], 0x10
	s_waitcnt lgkmcnt(0)
	s_add_u32 s4, s4, s2
	s_addc_u32 s5, s5, 0
	s_lshl_b64 s[8:9], s[2:3], 2
	global_load_u8 v2, v0, s[4:5] offset:256
	s_add_u32 s6, s6, s8
	s_addc_u32 s7, s7, s9
	global_load_u8 v3, v0, s[4:5] offset:768
	s_clause 0x3
	global_load_b32 v4, v1, s[6:7]
	global_load_b32 v5, v1, s[6:7] offset:1024
	global_load_b32 v6, v1, s[6:7] offset:2048
	;; [unrolled: 1-line block ×3, first 2 shown]
	s_clause 0x1
	global_load_u8 v8, v0, s[4:5]
	global_load_u8 v9, v0, s[4:5] offset:512
	v_lshrrev_b32_e32 v0, 3, v0
	s_movk_i32 s3, 0x64
	s_delay_alu instid0(VALU_DEP_1) | instskip(NEXT) | instid1(VALU_DEP_1)
	v_and_b32_e32 v0, 28, v0
	v_add_nc_u32_e32 v0, v0, v1
	s_waitcnt vmcnt(6)
	v_lshlrev_b16 v3, 8, v3
	s_waitcnt vmcnt(5)
	v_lshrrev_b32_e32 v10, 5, v4
	s_waitcnt vmcnt(4)
	v_lshrrev_b32_e32 v11, 5, v5
	v_lshlrev_b16 v2, 8, v2
	s_waitcnt vmcnt(3)
	v_lshrrev_b32_e32 v12, 5, v6
	s_waitcnt vmcnt(2)
	v_lshrrev_b32_e32 v13, 5, v7
	s_waitcnt vmcnt(0)
	v_or_b32_e32 v3, v9, v3
	v_and_b32_e32 v9, 0x7fffffc, v11
	v_or_b32_e32 v2, v8, v2
	v_and_b32_e32 v8, 0x7fffffc, v10
	v_and_b32_e32 v10, 0x7fffffc, v12
	v_lshlrev_b32_e32 v12, 16, v3
	v_and_b32_e32 v13, 0x7fffffc, v13
	v_and_b32_e32 v11, 0xffff, v2
	v_add_nc_u32_e32 v2, v8, v4
	v_add_nc_u32_e32 v3, v9, v5
	;; [unrolled: 1-line block ×4, first 2 shown]
	v_or_b32_e32 v5, v11, v12
	.p2align	6
.LBB129_1:                              ; =>This Inner Loop Header: Depth=1
	s_delay_alu instid0(VALU_DEP_1)
	v_lshrrev_b32_e32 v7, 8, v5
	v_lshrrev_b32_e32 v8, 24, v5
	s_add_i32 s3, s3, -1
	ds_store_b8 v2, v5
	ds_store_b8 v3, v7
	ds_store_b8_d16_hi v4, v5
	ds_store_b8 v6, v8
	s_waitcnt lgkmcnt(0)
	s_barrier
	buffer_gl0_inv
	ds_load_b32 v5, v0
	s_cmp_lg_u32 s3, 0
	s_waitcnt lgkmcnt(0)
	s_barrier
	buffer_gl0_inv
	s_cbranch_scc1 .LBB129_1
; %bb.2:
	s_add_u32 s0, s0, s2
	s_addc_u32 s1, s1, 0
	global_store_b32 v1, v5, s[0:1]
	s_nop 0
	s_sendmsg sendmsg(MSG_DEALLOC_VGPRS)
	s_endpgm
	.section	.rodata,"a",@progbits
	.p2align	6, 0x0
	.amdhsa_kernel _Z6kernelI18scatter_to_blockedaLj256ELj4ELj100EEvPKT0_PKjPS1_
		.amdhsa_group_segment_fixed_size 1056
		.amdhsa_private_segment_fixed_size 0
		.amdhsa_kernarg_size 24
		.amdhsa_user_sgpr_count 15
		.amdhsa_user_sgpr_dispatch_ptr 0
		.amdhsa_user_sgpr_queue_ptr 0
		.amdhsa_user_sgpr_kernarg_segment_ptr 1
		.amdhsa_user_sgpr_dispatch_id 0
		.amdhsa_user_sgpr_private_segment_size 0
		.amdhsa_wavefront_size32 1
		.amdhsa_uses_dynamic_stack 0
		.amdhsa_enable_private_segment 0
		.amdhsa_system_sgpr_workgroup_id_x 1
		.amdhsa_system_sgpr_workgroup_id_y 0
		.amdhsa_system_sgpr_workgroup_id_z 0
		.amdhsa_system_sgpr_workgroup_info 0
		.amdhsa_system_vgpr_workitem_id 0
		.amdhsa_next_free_vgpr 14
		.amdhsa_next_free_sgpr 16
		.amdhsa_reserve_vcc 0
		.amdhsa_float_round_mode_32 0
		.amdhsa_float_round_mode_16_64 0
		.amdhsa_float_denorm_mode_32 3
		.amdhsa_float_denorm_mode_16_64 3
		.amdhsa_dx10_clamp 1
		.amdhsa_ieee_mode 1
		.amdhsa_fp16_overflow 0
		.amdhsa_workgroup_processor_mode 1
		.amdhsa_memory_ordered 1
		.amdhsa_forward_progress 0
		.amdhsa_shared_vgpr_count 0
		.amdhsa_exception_fp_ieee_invalid_op 0
		.amdhsa_exception_fp_denorm_src 0
		.amdhsa_exception_fp_ieee_div_zero 0
		.amdhsa_exception_fp_ieee_overflow 0
		.amdhsa_exception_fp_ieee_underflow 0
		.amdhsa_exception_fp_ieee_inexact 0
		.amdhsa_exception_int_div_zero 0
	.end_amdhsa_kernel
	.section	.text._Z6kernelI18scatter_to_blockedaLj256ELj4ELj100EEvPKT0_PKjPS1_,"axG",@progbits,_Z6kernelI18scatter_to_blockedaLj256ELj4ELj100EEvPKT0_PKjPS1_,comdat
.Lfunc_end129:
	.size	_Z6kernelI18scatter_to_blockedaLj256ELj4ELj100EEvPKT0_PKjPS1_, .Lfunc_end129-_Z6kernelI18scatter_to_blockedaLj256ELj4ELj100EEvPKT0_PKjPS1_
                                        ; -- End function
	.section	.AMDGPU.csdata,"",@progbits
; Kernel info:
; codeLenInByte = 396
; NumSgprs: 16
; NumVgprs: 14
; ScratchSize: 0
; MemoryBound: 0
; FloatMode: 240
; IeeeMode: 1
; LDSByteSize: 1056 bytes/workgroup (compile time only)
; SGPRBlocks: 1
; VGPRBlocks: 1
; NumSGPRsForWavesPerEU: 16
; NumVGPRsForWavesPerEU: 14
; Occupancy: 16
; WaveLimiterHint : 1
; COMPUTE_PGM_RSRC2:SCRATCH_EN: 0
; COMPUTE_PGM_RSRC2:USER_SGPR: 15
; COMPUTE_PGM_RSRC2:TRAP_HANDLER: 0
; COMPUTE_PGM_RSRC2:TGID_X_EN: 1
; COMPUTE_PGM_RSRC2:TGID_Y_EN: 0
; COMPUTE_PGM_RSRC2:TGID_Z_EN: 0
; COMPUTE_PGM_RSRC2:TIDIG_COMP_CNT: 0
	.section	.text._Z6kernelI18scatter_to_blockedaLj256ELj7ELj100EEvPKT0_PKjPS1_,"axG",@progbits,_Z6kernelI18scatter_to_blockedaLj256ELj7ELj100EEvPKT0_PKjPS1_,comdat
	.protected	_Z6kernelI18scatter_to_blockedaLj256ELj7ELj100EEvPKT0_PKjPS1_ ; -- Begin function _Z6kernelI18scatter_to_blockedaLj256ELj7ELj100EEvPKT0_PKjPS1_
	.globl	_Z6kernelI18scatter_to_blockedaLj256ELj7ELj100EEvPKT0_PKjPS1_
	.p2align	8
	.type	_Z6kernelI18scatter_to_blockedaLj256ELj7ELj100EEvPKT0_PKjPS1_,@function
_Z6kernelI18scatter_to_blockedaLj256ELj7ELj100EEvPKT0_PKjPS1_: ; @_Z6kernelI18scatter_to_blockedaLj256ELj7ELj100EEvPKT0_PKjPS1_
; %bb.0:
	s_load_b128 s[4:7], s[0:1], 0x0
	s_mul_i32 s2, s15, 0x700
	s_mov_b32 s3, 0
	v_lshlrev_b32_e32 v7, 2, v0
	s_load_b64 s[0:1], s[0:1], 0x10
	s_waitcnt lgkmcnt(0)
	s_add_u32 s4, s4, s2
	s_addc_u32 s5, s5, 0
	s_lshl_b64 s[8:9], s[2:3], 2
	s_clause 0x3
	global_load_u8 v12, v0, s[4:5]
	global_load_u8 v13, v0, s[4:5] offset:256
	global_load_u8 v14, v0, s[4:5] offset:512
	;; [unrolled: 1-line block ×3, first 2 shown]
	s_add_u32 s6, s6, s8
	s_addc_u32 s7, s7, s9
	v_add_co_u32 v4, s3, s6, v7
	s_delay_alu instid0(VALU_DEP_1)
	v_add_co_ci_u32_e64 v5, null, s7, 0, s3
	s_clause 0x2
	global_load_u8 v2, v0, s[4:5] offset:1024
	global_load_u8 v3, v0, s[4:5] offset:1280
	;; [unrolled: 1-line block ×3, first 2 shown]
	v_add_co_u32 v10, vcc_lo, 0x1000, v4
	v_add_co_ci_u32_e32 v11, vcc_lo, 0, v5, vcc_lo
	s_clause 0x6
	global_load_b32 v4, v7, s[6:7]
	global_load_b32 v5, v7, s[6:7] offset:1024
	global_load_b32 v6, v7, s[6:7] offset:2048
	;; [unrolled: 1-line block ×3, first 2 shown]
	global_load_b32 v8, v[10:11], off
	global_load_b32 v9, v[10:11], off offset:1024
	global_load_b32 v10, v[10:11], off offset:2048
	v_mul_u32_u24_e32 v0, 7, v0
	s_movk_i32 s3, 0x64
	s_waitcnt vmcnt(12)
	v_lshlrev_b16 v11, 8, v13
	s_waitcnt vmcnt(10)
	v_lshlrev_b16 v13, 8, v15
	s_delay_alu instid0(VALU_DEP_2) | instskip(NEXT) | instid1(VALU_DEP_2)
	v_or_b32_e32 v11, v12, v11
	v_or_b32_e32 v12, v14, v13
	s_delay_alu instid0(VALU_DEP_2) | instskip(NEXT) | instid1(VALU_DEP_2)
	v_and_b32_e32 v11, 0xffff, v11
	v_lshlrev_b32_e32 v12, 16, v12
	s_delay_alu instid0(VALU_DEP_1)
	v_or_b32_e32 v11, v11, v12
	.p2align	6
.LBB130_1:                              ; =>This Inner Loop Header: Depth=1
	s_delay_alu instid0(VALU_DEP_1)
	v_lshrrev_b32_e32 v12, 8, v11
	v_lshrrev_b32_e32 v13, 24, v11
	s_add_i32 s3, s3, -1
	s_waitcnt vmcnt(6)
	ds_store_b8 v4, v11
	s_waitcnt vmcnt(5)
	ds_store_b8 v5, v12
	s_waitcnt vmcnt(4)
	ds_store_b8_d16_hi v6, v11
	s_waitcnt vmcnt(3)
	ds_store_b8 v7, v13
	s_waitcnt vmcnt(2)
	ds_store_b8 v8, v2
	;; [unrolled: 2-line block ×4, first 2 shown]
	s_waitcnt lgkmcnt(0)
	s_barrier
	buffer_gl0_inv
	ds_load_b32 v11, v0
	ds_load_u8 v2, v0 offset:4
	ds_load_u8 v3, v0 offset:5
	;; [unrolled: 1-line block ×3, first 2 shown]
	s_cmp_lg_u32 s3, 0
	s_waitcnt lgkmcnt(0)
	s_barrier
	buffer_gl0_inv
	s_cbranch_scc1 .LBB130_1
; %bb.2:
	v_lshlrev_b16 v3, 8, v3
	v_and_b32_e32 v2, 0xff, v2
	s_add_u32 s0, s0, s2
	s_addc_u32 s1, s1, 0
	s_delay_alu instid0(VALU_DEP_1)
	v_or_b32_e32 v2, v2, v3
	s_clause 0x2
	global_store_b8 v0, v1, s[0:1] offset:6
	global_store_b16 v0, v2, s[0:1] offset:4
	global_store_b32 v0, v11, s[0:1]
	s_nop 0
	s_sendmsg sendmsg(MSG_DEALLOC_VGPRS)
	s_endpgm
	.section	.rodata,"a",@progbits
	.p2align	6, 0x0
	.amdhsa_kernel _Z6kernelI18scatter_to_blockedaLj256ELj7ELj100EEvPKT0_PKjPS1_
		.amdhsa_group_segment_fixed_size 1792
		.amdhsa_private_segment_fixed_size 0
		.amdhsa_kernarg_size 24
		.amdhsa_user_sgpr_count 15
		.amdhsa_user_sgpr_dispatch_ptr 0
		.amdhsa_user_sgpr_queue_ptr 0
		.amdhsa_user_sgpr_kernarg_segment_ptr 1
		.amdhsa_user_sgpr_dispatch_id 0
		.amdhsa_user_sgpr_private_segment_size 0
		.amdhsa_wavefront_size32 1
		.amdhsa_uses_dynamic_stack 0
		.amdhsa_enable_private_segment 0
		.amdhsa_system_sgpr_workgroup_id_x 1
		.amdhsa_system_sgpr_workgroup_id_y 0
		.amdhsa_system_sgpr_workgroup_id_z 0
		.amdhsa_system_sgpr_workgroup_info 0
		.amdhsa_system_vgpr_workitem_id 0
		.amdhsa_next_free_vgpr 16
		.amdhsa_next_free_sgpr 16
		.amdhsa_reserve_vcc 1
		.amdhsa_float_round_mode_32 0
		.amdhsa_float_round_mode_16_64 0
		.amdhsa_float_denorm_mode_32 3
		.amdhsa_float_denorm_mode_16_64 3
		.amdhsa_dx10_clamp 1
		.amdhsa_ieee_mode 1
		.amdhsa_fp16_overflow 0
		.amdhsa_workgroup_processor_mode 1
		.amdhsa_memory_ordered 1
		.amdhsa_forward_progress 0
		.amdhsa_shared_vgpr_count 0
		.amdhsa_exception_fp_ieee_invalid_op 0
		.amdhsa_exception_fp_denorm_src 0
		.amdhsa_exception_fp_ieee_div_zero 0
		.amdhsa_exception_fp_ieee_overflow 0
		.amdhsa_exception_fp_ieee_underflow 0
		.amdhsa_exception_fp_ieee_inexact 0
		.amdhsa_exception_int_div_zero 0
	.end_amdhsa_kernel
	.section	.text._Z6kernelI18scatter_to_blockedaLj256ELj7ELj100EEvPKT0_PKjPS1_,"axG",@progbits,_Z6kernelI18scatter_to_blockedaLj256ELj7ELj100EEvPKT0_PKjPS1_,comdat
.Lfunc_end130:
	.size	_Z6kernelI18scatter_to_blockedaLj256ELj7ELj100EEvPKT0_PKjPS1_, .Lfunc_end130-_Z6kernelI18scatter_to_blockedaLj256ELj7ELj100EEvPKT0_PKjPS1_
                                        ; -- End function
	.section	.AMDGPU.csdata,"",@progbits
; Kernel info:
; codeLenInByte = 528
; NumSgprs: 18
; NumVgprs: 16
; ScratchSize: 0
; MemoryBound: 0
; FloatMode: 240
; IeeeMode: 1
; LDSByteSize: 1792 bytes/workgroup (compile time only)
; SGPRBlocks: 2
; VGPRBlocks: 1
; NumSGPRsForWavesPerEU: 18
; NumVGPRsForWavesPerEU: 16
; Occupancy: 16
; WaveLimiterHint : 1
; COMPUTE_PGM_RSRC2:SCRATCH_EN: 0
; COMPUTE_PGM_RSRC2:USER_SGPR: 15
; COMPUTE_PGM_RSRC2:TRAP_HANDLER: 0
; COMPUTE_PGM_RSRC2:TGID_X_EN: 1
; COMPUTE_PGM_RSRC2:TGID_Y_EN: 0
; COMPUTE_PGM_RSRC2:TGID_Z_EN: 0
; COMPUTE_PGM_RSRC2:TIDIG_COMP_CNT: 0
	.section	.text._Z6kernelI18scatter_to_blockedaLj256ELj8ELj100EEvPKT0_PKjPS1_,"axG",@progbits,_Z6kernelI18scatter_to_blockedaLj256ELj8ELj100EEvPKT0_PKjPS1_,comdat
	.protected	_Z6kernelI18scatter_to_blockedaLj256ELj8ELj100EEvPKT0_PKjPS1_ ; -- Begin function _Z6kernelI18scatter_to_blockedaLj256ELj8ELj100EEvPKT0_PKjPS1_
	.globl	_Z6kernelI18scatter_to_blockedaLj256ELj8ELj100EEvPKT0_PKjPS1_
	.p2align	8
	.type	_Z6kernelI18scatter_to_blockedaLj256ELj8ELj100EEvPKT0_PKjPS1_,@function
_Z6kernelI18scatter_to_blockedaLj256ELj8ELj100EEvPKT0_PKjPS1_: ; @_Z6kernelI18scatter_to_blockedaLj256ELj8ELj100EEvPKT0_PKjPS1_
; %bb.0:
	s_load_b128 s[4:7], s[0:1], 0x0
	s_lshl_b32 s2, s15, 11
	s_mov_b32 s3, 0
	v_lshlrev_b32_e32 v1, 2, v0
	s_load_b64 s[0:1], s[0:1], 0x10
	s_waitcnt lgkmcnt(0)
	s_add_u32 s4, s4, s2
	s_addc_u32 s5, s5, 0
	s_lshl_b64 s[8:9], s[2:3], 2
	s_clause 0x5
	global_load_u8 v4, v0, s[4:5]
	global_load_u8 v5, v0, s[4:5] offset:256
	global_load_u8 v6, v0, s[4:5] offset:512
	;; [unrolled: 1-line block ×5, first 2 shown]
	s_add_u32 s6, s6, s8
	s_addc_u32 s7, s7, s9
	global_load_u8 v10, v0, s[4:5] offset:1792
	s_clause 0x3
	global_load_b32 v11, v1, s[6:7]
	global_load_b32 v12, v1, s[6:7] offset:1024
	global_load_b32 v13, v1, s[6:7] offset:2048
	;; [unrolled: 1-line block ×3, first 2 shown]
	v_add_co_u32 v1, s3, s6, v1
	s_delay_alu instid0(VALU_DEP_1)
	v_add_co_ci_u32_e64 v2, null, s7, 0, s3
	global_load_u8 v15, v0, s[4:5] offset:1536
	v_add_co_u32 v1, vcc_lo, 0x1000, v1
	v_add_co_ci_u32_e32 v2, vcc_lo, 0, v2, vcc_lo
	s_movk_i32 s3, 0x64
	s_clause 0x3
	global_load_b32 v16, v[1:2], off
	global_load_b32 v17, v[1:2], off offset:1024
	global_load_b32 v18, v[1:2], off offset:2048
	;; [unrolled: 1-line block ×3, first 2 shown]
	v_lshrrev_b32_e32 v1, 2, v0
	v_lshlrev_b32_e32 v2, 3, v0
	s_delay_alu instid0(VALU_DEP_2) | instskip(NEXT) | instid1(VALU_DEP_1)
	v_and_b32_e32 v0, 60, v1
	v_add_nc_u32_e32 v3, v0, v2
	s_waitcnt vmcnt(14)
	v_lshlrev_b16 v0, 8, v5
	s_waitcnt vmcnt(12)
	v_lshlrev_b16 v1, 8, v7
	;; [unrolled: 2-line block ×3, first 2 shown]
	v_lshlrev_b16 v5, 8, v9
	s_waitcnt vmcnt(8)
	v_lshrrev_b32_e32 v9, 5, v11
	s_waitcnt vmcnt(7)
	v_lshrrev_b32_e32 v10, 5, v12
	s_waitcnt vmcnt(6)
	v_lshrrev_b32_e32 v20, 5, v13
	s_waitcnt vmcnt(5)
	v_lshrrev_b32_e32 v21, 5, v14
	v_or_b32_e32 v0, v4, v0
	v_or_b32_e32 v1, v6, v1
	;; [unrolled: 1-line block ×3, first 2 shown]
	s_waitcnt vmcnt(4)
	v_or_b32_e32 v5, v15, v7
	v_and_b32_e32 v6, 0x7fffffc, v9
	v_and_b32_e32 v7, 0x7fffffc, v10
	;; [unrolled: 1-line block ×4, first 2 shown]
	s_waitcnt vmcnt(3)
	v_lshrrev_b32_e32 v20, 5, v16
	s_waitcnt vmcnt(2)
	v_lshrrev_b32_e32 v21, 5, v17
	;; [unrolled: 2-line block ×4, first 2 shown]
	v_and_b32_e32 v0, 0xffff, v0
	v_lshlrev_b32_e32 v1, 16, v1
	v_and_b32_e32 v10, 0xffff, v4
	v_lshlrev_b32_e32 v15, 16, v5
	v_add_nc_u32_e32 v4, v6, v11
	v_add_nc_u32_e32 v5, v7, v12
	;; [unrolled: 1-line block ×4, first 2 shown]
	v_and_b32_e32 v8, 0x7fffffc, v20
	v_and_b32_e32 v9, 0x7fffffc, v21
	;; [unrolled: 1-line block ×4, first 2 shown]
	v_or_b32_e32 v0, v0, v1
	v_or_b32_e32 v1, v10, v15
	v_add_nc_u32_e32 v8, v8, v16
	v_add_nc_u32_e32 v9, v9, v17
	;; [unrolled: 1-line block ×4, first 2 shown]
	.p2align	6
.LBB131_1:                              ; =>This Inner Loop Header: Depth=1
	v_lshrrev_b32_e32 v12, 8, v0
	v_lshrrev_b32_e32 v13, 24, v0
	;; [unrolled: 1-line block ×3, first 2 shown]
	ds_store_b8 v4, v0
	s_add_i32 s3, s3, -1
	ds_store_b8 v5, v12
	ds_store_b8_d16_hi v6, v0
	v_lshrrev_b32_e32 v0, 24, v1
	ds_store_b8 v7, v13
	ds_store_b8 v8, v1
	;; [unrolled: 1-line block ×3, first 2 shown]
	ds_store_b8_d16_hi v10, v1
	ds_store_b8 v11, v0
	s_waitcnt lgkmcnt(0)
	s_barrier
	buffer_gl0_inv
	ds_load_2addr_b32 v[0:1], v3 offset1:1
	s_cmp_lg_u32 s3, 0
	s_waitcnt lgkmcnt(0)
	s_barrier
	buffer_gl0_inv
	s_cbranch_scc1 .LBB131_1
; %bb.2:
	v_lshrrev_b32_e32 v3, 8, v1
	v_lshrrev_b32_e32 v4, 24, v1
	;; [unrolled: 1-line block ×3, first 2 shown]
	v_and_b32_e32 v1, 0xff, v1
	s_add_u32 s0, s0, s2
	v_lshlrev_b16 v3, 8, v3
	v_lshlrev_b16 v4, 8, v4
	v_and_b32_e32 v5, 0xff, v5
	s_addc_u32 s1, s1, 0
	s_delay_alu instid0(VALU_DEP_3) | instskip(NEXT) | instid1(VALU_DEP_2)
	v_or_b32_e32 v1, v1, v3
	v_or_b32_e32 v3, v5, v4
	s_delay_alu instid0(VALU_DEP_2) | instskip(NEXT) | instid1(VALU_DEP_2)
	v_and_b32_e32 v1, 0xffff, v1
	v_lshlrev_b32_e32 v3, 16, v3
	s_delay_alu instid0(VALU_DEP_1)
	v_or_b32_e32 v1, v1, v3
	global_store_b64 v2, v[0:1], s[0:1]
	s_nop 0
	s_sendmsg sendmsg(MSG_DEALLOC_VGPRS)
	s_endpgm
	.section	.rodata,"a",@progbits
	.p2align	6, 0x0
	.amdhsa_kernel _Z6kernelI18scatter_to_blockedaLj256ELj8ELj100EEvPKT0_PKjPS1_
		.amdhsa_group_segment_fixed_size 2112
		.amdhsa_private_segment_fixed_size 0
		.amdhsa_kernarg_size 24
		.amdhsa_user_sgpr_count 15
		.amdhsa_user_sgpr_dispatch_ptr 0
		.amdhsa_user_sgpr_queue_ptr 0
		.amdhsa_user_sgpr_kernarg_segment_ptr 1
		.amdhsa_user_sgpr_dispatch_id 0
		.amdhsa_user_sgpr_private_segment_size 0
		.amdhsa_wavefront_size32 1
		.amdhsa_uses_dynamic_stack 0
		.amdhsa_enable_private_segment 0
		.amdhsa_system_sgpr_workgroup_id_x 1
		.amdhsa_system_sgpr_workgroup_id_y 0
		.amdhsa_system_sgpr_workgroup_id_z 0
		.amdhsa_system_sgpr_workgroup_info 0
		.amdhsa_system_vgpr_workitem_id 0
		.amdhsa_next_free_vgpr 24
		.amdhsa_next_free_sgpr 16
		.amdhsa_reserve_vcc 1
		.amdhsa_float_round_mode_32 0
		.amdhsa_float_round_mode_16_64 0
		.amdhsa_float_denorm_mode_32 3
		.amdhsa_float_denorm_mode_16_64 3
		.amdhsa_dx10_clamp 1
		.amdhsa_ieee_mode 1
		.amdhsa_fp16_overflow 0
		.amdhsa_workgroup_processor_mode 1
		.amdhsa_memory_ordered 1
		.amdhsa_forward_progress 0
		.amdhsa_shared_vgpr_count 0
		.amdhsa_exception_fp_ieee_invalid_op 0
		.amdhsa_exception_fp_denorm_src 0
		.amdhsa_exception_fp_ieee_div_zero 0
		.amdhsa_exception_fp_ieee_overflow 0
		.amdhsa_exception_fp_ieee_underflow 0
		.amdhsa_exception_fp_ieee_inexact 0
		.amdhsa_exception_int_div_zero 0
	.end_amdhsa_kernel
	.section	.text._Z6kernelI18scatter_to_blockedaLj256ELj8ELj100EEvPKT0_PKjPS1_,"axG",@progbits,_Z6kernelI18scatter_to_blockedaLj256ELj8ELj100EEvPKT0_PKjPS1_,comdat
.Lfunc_end131:
	.size	_Z6kernelI18scatter_to_blockedaLj256ELj8ELj100EEvPKT0_PKjPS1_, .Lfunc_end131-_Z6kernelI18scatter_to_blockedaLj256ELj8ELj100EEvPKT0_PKjPS1_
                                        ; -- End function
	.section	.AMDGPU.csdata,"",@progbits
; Kernel info:
; codeLenInByte = 748
; NumSgprs: 18
; NumVgprs: 24
; ScratchSize: 0
; MemoryBound: 0
; FloatMode: 240
; IeeeMode: 1
; LDSByteSize: 2112 bytes/workgroup (compile time only)
; SGPRBlocks: 2
; VGPRBlocks: 2
; NumSGPRsForWavesPerEU: 18
; NumVGPRsForWavesPerEU: 24
; Occupancy: 16
; WaveLimiterHint : 1
; COMPUTE_PGM_RSRC2:SCRATCH_EN: 0
; COMPUTE_PGM_RSRC2:USER_SGPR: 15
; COMPUTE_PGM_RSRC2:TRAP_HANDLER: 0
; COMPUTE_PGM_RSRC2:TGID_X_EN: 1
; COMPUTE_PGM_RSRC2:TGID_Y_EN: 0
; COMPUTE_PGM_RSRC2:TGID_Z_EN: 0
; COMPUTE_PGM_RSRC2:TIDIG_COMP_CNT: 0
	.section	.text._Z6kernelI18scatter_to_blockedxLj256ELj1ELj100EEvPKT0_PKjPS1_,"axG",@progbits,_Z6kernelI18scatter_to_blockedxLj256ELj1ELj100EEvPKT0_PKjPS1_,comdat
	.protected	_Z6kernelI18scatter_to_blockedxLj256ELj1ELj100EEvPKT0_PKjPS1_ ; -- Begin function _Z6kernelI18scatter_to_blockedxLj256ELj1ELj100EEvPKT0_PKjPS1_
	.globl	_Z6kernelI18scatter_to_blockedxLj256ELj1ELj100EEvPKT0_PKjPS1_
	.p2align	8
	.type	_Z6kernelI18scatter_to_blockedxLj256ELj1ELj100EEvPKT0_PKjPS1_,@function
_Z6kernelI18scatter_to_blockedxLj256ELj1ELj100EEvPKT0_PKjPS1_: ; @_Z6kernelI18scatter_to_blockedxLj256ELj1ELj100EEvPKT0_PKjPS1_
; %bb.0:
	s_load_b128 s[4:7], s[0:1], 0x0
	s_mov_b32 s9, 0
	s_lshl_b32 s8, s15, 8
	v_lshlrev_b32_e32 v1, 2, v0
	s_lshl_b64 s[2:3], s[8:9], 3
	v_lshlrev_b32_e32 v3, 3, v0
	s_load_b64 s[0:1], s[0:1], 0x10
	s_waitcnt lgkmcnt(0)
	s_add_u32 s4, s4, s2
	s_addc_u32 s5, s5, s3
	s_lshl_b64 s[8:9], s[8:9], 2
	s_delay_alu instid0(SALU_CYCLE_1)
	s_add_u32 s6, s6, s8
	s_addc_u32 s7, s7, s9
	global_load_b32 v4, v1, s[6:7]
	global_load_b64 v[1:2], v3, s[4:5]
	s_movk_i32 s4, 0x64
	s_waitcnt vmcnt(1)
	v_lshlrev_b32_e32 v4, 3, v4
.LBB132_1:                              ; =>This Inner Loop Header: Depth=1
	s_waitcnt vmcnt(0)
	ds_store_b64 v4, v[1:2]
	s_waitcnt lgkmcnt(0)
	s_barrier
	buffer_gl0_inv
	ds_load_b64 v[1:2], v3
	s_add_i32 s4, s4, -1
	s_waitcnt lgkmcnt(0)
	s_cmp_lg_u32 s4, 0
	s_barrier
	buffer_gl0_inv
	s_cbranch_scc1 .LBB132_1
; %bb.2:
	v_lshlrev_b32_e32 v0, 3, v0
	s_add_u32 s0, s0, s2
	s_addc_u32 s1, s1, s3
	global_store_b64 v0, v[1:2], s[0:1]
	s_nop 0
	s_sendmsg sendmsg(MSG_DEALLOC_VGPRS)
	s_endpgm
	.section	.rodata,"a",@progbits
	.p2align	6, 0x0
	.amdhsa_kernel _Z6kernelI18scatter_to_blockedxLj256ELj1ELj100EEvPKT0_PKjPS1_
		.amdhsa_group_segment_fixed_size 2048
		.amdhsa_private_segment_fixed_size 0
		.amdhsa_kernarg_size 24
		.amdhsa_user_sgpr_count 15
		.amdhsa_user_sgpr_dispatch_ptr 0
		.amdhsa_user_sgpr_queue_ptr 0
		.amdhsa_user_sgpr_kernarg_segment_ptr 1
		.amdhsa_user_sgpr_dispatch_id 0
		.amdhsa_user_sgpr_private_segment_size 0
		.amdhsa_wavefront_size32 1
		.amdhsa_uses_dynamic_stack 0
		.amdhsa_enable_private_segment 0
		.amdhsa_system_sgpr_workgroup_id_x 1
		.amdhsa_system_sgpr_workgroup_id_y 0
		.amdhsa_system_sgpr_workgroup_id_z 0
		.amdhsa_system_sgpr_workgroup_info 0
		.amdhsa_system_vgpr_workitem_id 0
		.amdhsa_next_free_vgpr 5
		.amdhsa_next_free_sgpr 16
		.amdhsa_reserve_vcc 0
		.amdhsa_float_round_mode_32 0
		.amdhsa_float_round_mode_16_64 0
		.amdhsa_float_denorm_mode_32 3
		.amdhsa_float_denorm_mode_16_64 3
		.amdhsa_dx10_clamp 1
		.amdhsa_ieee_mode 1
		.amdhsa_fp16_overflow 0
		.amdhsa_workgroup_processor_mode 1
		.amdhsa_memory_ordered 1
		.amdhsa_forward_progress 0
		.amdhsa_shared_vgpr_count 0
		.amdhsa_exception_fp_ieee_invalid_op 0
		.amdhsa_exception_fp_denorm_src 0
		.amdhsa_exception_fp_ieee_div_zero 0
		.amdhsa_exception_fp_ieee_overflow 0
		.amdhsa_exception_fp_ieee_underflow 0
		.amdhsa_exception_fp_ieee_inexact 0
		.amdhsa_exception_int_div_zero 0
	.end_amdhsa_kernel
	.section	.text._Z6kernelI18scatter_to_blockedxLj256ELj1ELj100EEvPKT0_PKjPS1_,"axG",@progbits,_Z6kernelI18scatter_to_blockedxLj256ELj1ELj100EEvPKT0_PKjPS1_,comdat
.Lfunc_end132:
	.size	_Z6kernelI18scatter_to_blockedxLj256ELj1ELj100EEvPKT0_PKjPS1_, .Lfunc_end132-_Z6kernelI18scatter_to_blockedxLj256ELj1ELj100EEvPKT0_PKjPS1_
                                        ; -- End function
	.section	.AMDGPU.csdata,"",@progbits
; Kernel info:
; codeLenInByte = 188
; NumSgprs: 16
; NumVgprs: 5
; ScratchSize: 0
; MemoryBound: 0
; FloatMode: 240
; IeeeMode: 1
; LDSByteSize: 2048 bytes/workgroup (compile time only)
; SGPRBlocks: 1
; VGPRBlocks: 0
; NumSGPRsForWavesPerEU: 16
; NumVGPRsForWavesPerEU: 5
; Occupancy: 16
; WaveLimiterHint : 0
; COMPUTE_PGM_RSRC2:SCRATCH_EN: 0
; COMPUTE_PGM_RSRC2:USER_SGPR: 15
; COMPUTE_PGM_RSRC2:TRAP_HANDLER: 0
; COMPUTE_PGM_RSRC2:TGID_X_EN: 1
; COMPUTE_PGM_RSRC2:TGID_Y_EN: 0
; COMPUTE_PGM_RSRC2:TGID_Z_EN: 0
; COMPUTE_PGM_RSRC2:TIDIG_COMP_CNT: 0
	.section	.text._Z6kernelI18scatter_to_blockedxLj256ELj2ELj100EEvPKT0_PKjPS1_,"axG",@progbits,_Z6kernelI18scatter_to_blockedxLj256ELj2ELj100EEvPKT0_PKjPS1_,comdat
	.protected	_Z6kernelI18scatter_to_blockedxLj256ELj2ELj100EEvPKT0_PKjPS1_ ; -- Begin function _Z6kernelI18scatter_to_blockedxLj256ELj2ELj100EEvPKT0_PKjPS1_
	.globl	_Z6kernelI18scatter_to_blockedxLj256ELj2ELj100EEvPKT0_PKjPS1_
	.p2align	8
	.type	_Z6kernelI18scatter_to_blockedxLj256ELj2ELj100EEvPKT0_PKjPS1_,@function
_Z6kernelI18scatter_to_blockedxLj256ELj2ELj100EEvPKT0_PKjPS1_: ; @_Z6kernelI18scatter_to_blockedxLj256ELj2ELj100EEvPKT0_PKjPS1_
; %bb.0:
	s_load_b128 s[4:7], s[0:1], 0x0
	s_mov_b32 s9, 0
	s_lshl_b32 s8, s15, 9
	v_lshlrev_b32_e32 v1, 2, v0
	s_lshl_b64 s[2:3], s[8:9], 3
	v_lshlrev_b32_e32 v3, 3, v0
	s_load_b64 s[0:1], s[0:1], 0x10
	v_lshlrev_b32_e32 v5, 1, v0
	v_lshrrev_b32_e32 v10, 4, v0
	s_waitcnt lgkmcnt(0)
	s_add_u32 s4, s4, s2
	s_addc_u32 s5, s5, s3
	s_lshl_b64 s[8:9], s[8:9], 2
	s_delay_alu instid0(SALU_CYCLE_1)
	s_add_u32 s6, s6, s8
	s_addc_u32 s7, s7, s9
	s_clause 0x1
	global_load_b32 v6, v1, s[6:7]
	global_load_b32 v7, v1, s[6:7] offset:1024
	s_clause 0x1
	global_load_b64 v[1:2], v3, s[4:5]
	global_load_b64 v[3:4], v3, s[4:5] offset:2048
	s_movk_i32 s4, 0x64
	s_waitcnt vmcnt(3)
	v_lshrrev_b32_e32 v8, 2, v6
	s_waitcnt vmcnt(2)
	v_lshrrev_b32_e32 v9, 2, v7
	s_delay_alu instid0(VALU_DEP_2) | instskip(NEXT) | instid1(VALU_DEP_2)
	v_and_b32_e32 v8, 0x3ffffff8, v8
	v_and_b32_e32 v9, 0x3ffffff8, v9
	s_delay_alu instid0(VALU_DEP_2) | instskip(NEXT) | instid1(VALU_DEP_2)
	v_lshl_add_u32 v0, v6, 3, v8
	v_lshl_add_u32 v6, v7, 3, v9
	v_add_lshl_u32 v7, v10, v5, 3
.LBB133_1:                              ; =>This Inner Loop Header: Depth=1
	s_waitcnt vmcnt(1)
	ds_store_b64 v0, v[1:2]
	s_waitcnt vmcnt(0)
	ds_store_b64 v6, v[3:4]
	s_waitcnt lgkmcnt(0)
	s_barrier
	buffer_gl0_inv
	ds_load_2addr_b64 v[1:4], v7 offset1:1
	s_add_i32 s4, s4, -1
	s_waitcnt lgkmcnt(0)
	s_cmp_lg_u32 s4, 0
	s_barrier
	buffer_gl0_inv
	s_cbranch_scc1 .LBB133_1
; %bb.2:
	v_lshlrev_b32_e32 v0, 3, v5
	s_add_u32 s0, s0, s2
	s_addc_u32 s1, s1, s3
	global_store_b128 v0, v[1:4], s[0:1]
	s_nop 0
	s_sendmsg sendmsg(MSG_DEALLOC_VGPRS)
	s_endpgm
	.section	.rodata,"a",@progbits
	.p2align	6, 0x0
	.amdhsa_kernel _Z6kernelI18scatter_to_blockedxLj256ELj2ELj100EEvPKT0_PKjPS1_
		.amdhsa_group_segment_fixed_size 4224
		.amdhsa_private_segment_fixed_size 0
		.amdhsa_kernarg_size 24
		.amdhsa_user_sgpr_count 15
		.amdhsa_user_sgpr_dispatch_ptr 0
		.amdhsa_user_sgpr_queue_ptr 0
		.amdhsa_user_sgpr_kernarg_segment_ptr 1
		.amdhsa_user_sgpr_dispatch_id 0
		.amdhsa_user_sgpr_private_segment_size 0
		.amdhsa_wavefront_size32 1
		.amdhsa_uses_dynamic_stack 0
		.amdhsa_enable_private_segment 0
		.amdhsa_system_sgpr_workgroup_id_x 1
		.amdhsa_system_sgpr_workgroup_id_y 0
		.amdhsa_system_sgpr_workgroup_id_z 0
		.amdhsa_system_sgpr_workgroup_info 0
		.amdhsa_system_vgpr_workitem_id 0
		.amdhsa_next_free_vgpr 11
		.amdhsa_next_free_sgpr 16
		.amdhsa_reserve_vcc 0
		.amdhsa_float_round_mode_32 0
		.amdhsa_float_round_mode_16_64 0
		.amdhsa_float_denorm_mode_32 3
		.amdhsa_float_denorm_mode_16_64 3
		.amdhsa_dx10_clamp 1
		.amdhsa_ieee_mode 1
		.amdhsa_fp16_overflow 0
		.amdhsa_workgroup_processor_mode 1
		.amdhsa_memory_ordered 1
		.amdhsa_forward_progress 0
		.amdhsa_shared_vgpr_count 0
		.amdhsa_exception_fp_ieee_invalid_op 0
		.amdhsa_exception_fp_denorm_src 0
		.amdhsa_exception_fp_ieee_div_zero 0
		.amdhsa_exception_fp_ieee_overflow 0
		.amdhsa_exception_fp_ieee_underflow 0
		.amdhsa_exception_fp_ieee_inexact 0
		.amdhsa_exception_int_div_zero 0
	.end_amdhsa_kernel
	.section	.text._Z6kernelI18scatter_to_blockedxLj256ELj2ELj100EEvPKT0_PKjPS1_,"axG",@progbits,_Z6kernelI18scatter_to_blockedxLj256ELj2ELj100EEvPKT0_PKjPS1_,comdat
.Lfunc_end133:
	.size	_Z6kernelI18scatter_to_blockedxLj256ELj2ELj100EEvPKT0_PKjPS1_, .Lfunc_end133-_Z6kernelI18scatter_to_blockedxLj256ELj2ELj100EEvPKT0_PKjPS1_
                                        ; -- End function
	.section	.AMDGPU.csdata,"",@progbits
; Kernel info:
; codeLenInByte = 288
; NumSgprs: 16
; NumVgprs: 11
; ScratchSize: 0
; MemoryBound: 0
; FloatMode: 240
; IeeeMode: 1
; LDSByteSize: 4224 bytes/workgroup (compile time only)
; SGPRBlocks: 1
; VGPRBlocks: 1
; NumSGPRsForWavesPerEU: 16
; NumVGPRsForWavesPerEU: 11
; Occupancy: 16
; WaveLimiterHint : 1
; COMPUTE_PGM_RSRC2:SCRATCH_EN: 0
; COMPUTE_PGM_RSRC2:USER_SGPR: 15
; COMPUTE_PGM_RSRC2:TRAP_HANDLER: 0
; COMPUTE_PGM_RSRC2:TGID_X_EN: 1
; COMPUTE_PGM_RSRC2:TGID_Y_EN: 0
; COMPUTE_PGM_RSRC2:TGID_Z_EN: 0
; COMPUTE_PGM_RSRC2:TIDIG_COMP_CNT: 0
	.section	.text._Z6kernelI18scatter_to_blockedxLj256ELj3ELj100EEvPKT0_PKjPS1_,"axG",@progbits,_Z6kernelI18scatter_to_blockedxLj256ELj3ELj100EEvPKT0_PKjPS1_,comdat
	.protected	_Z6kernelI18scatter_to_blockedxLj256ELj3ELj100EEvPKT0_PKjPS1_ ; -- Begin function _Z6kernelI18scatter_to_blockedxLj256ELj3ELj100EEvPKT0_PKjPS1_
	.globl	_Z6kernelI18scatter_to_blockedxLj256ELj3ELj100EEvPKT0_PKjPS1_
	.p2align	8
	.type	_Z6kernelI18scatter_to_blockedxLj256ELj3ELj100EEvPKT0_PKjPS1_,@function
_Z6kernelI18scatter_to_blockedxLj256ELj3ELj100EEvPKT0_PKjPS1_: ; @_Z6kernelI18scatter_to_blockedxLj256ELj3ELj100EEvPKT0_PKjPS1_
; %bb.0:
	s_load_b128 s[4:7], s[0:1], 0x0
	s_mov_b32 s9, 0
	s_mul_i32 s8, s15, 0x300
	v_lshlrev_b32_e32 v3, 3, v0
	s_lshl_b64 s[2:3], s[8:9], 3
	v_lshlrev_b32_e32 v1, 2, v0
	s_load_b64 s[0:1], s[0:1], 0x10
	v_mul_u32_u24_e32 v0, 3, v0
	s_delay_alu instid0(VALU_DEP_1) | instskip(SKIP_4) | instid1(SALU_CYCLE_1)
	v_lshlrev_b32_e32 v0, 3, v0
	s_waitcnt lgkmcnt(0)
	s_add_u32 s4, s4, s2
	s_addc_u32 s5, s5, s3
	s_lshl_b64 s[8:9], s[8:9], 2
	s_add_u32 s6, s6, s8
	v_add_co_u32 v2, s8, s4, v3
	s_delay_alu instid0(VALU_DEP_1) | instskip(SKIP_1) | instid1(VALU_DEP_2)
	v_add_co_ci_u32_e64 v4, null, s5, 0, s8
	s_addc_u32 s7, s7, s9
	v_add_co_u32 v5, vcc_lo, 0x1000, v2
	s_clause 0x2
	global_load_b32 v7, v1, s[6:7]
	global_load_b32 v8, v1, s[6:7] offset:1024
	global_load_b32 v9, v1, s[6:7] offset:2048
	v_add_co_ci_u32_e32 v6, vcc_lo, 0, v4, vcc_lo
	s_clause 0x2
	global_load_b64 v[1:2], v3, s[4:5]
	global_load_b64 v[3:4], v3, s[4:5] offset:2048
	global_load_b64 v[5:6], v[5:6], off
	s_movk_i32 s4, 0x64
	s_waitcnt vmcnt(5)
	v_lshlrev_b32_e32 v7, 3, v7
	s_waitcnt vmcnt(4)
	v_lshlrev_b32_e32 v8, 3, v8
	;; [unrolled: 2-line block ×3, first 2 shown]
.LBB134_1:                              ; =>This Inner Loop Header: Depth=1
	s_waitcnt vmcnt(2)
	ds_store_b64 v7, v[1:2]
	s_waitcnt vmcnt(1)
	ds_store_b64 v8, v[3:4]
	;; [unrolled: 2-line block ×3, first 2 shown]
	s_waitcnt lgkmcnt(0)
	s_barrier
	buffer_gl0_inv
	ds_load_2addr_b64 v[1:4], v0 offset1:1
	ds_load_b64 v[5:6], v0 offset:16
	s_add_i32 s4, s4, -1
	s_waitcnt lgkmcnt(0)
	s_cmp_lg_u32 s4, 0
	s_barrier
	buffer_gl0_inv
	s_cbranch_scc1 .LBB134_1
; %bb.2:
	s_add_u32 s0, s0, s2
	s_addc_u32 s1, s1, s3
	s_clause 0x1
	global_store_b128 v0, v[1:4], s[0:1]
	global_store_b64 v0, v[5:6], s[0:1] offset:16
	s_nop 0
	s_sendmsg sendmsg(MSG_DEALLOC_VGPRS)
	s_endpgm
	.section	.rodata,"a",@progbits
	.p2align	6, 0x0
	.amdhsa_kernel _Z6kernelI18scatter_to_blockedxLj256ELj3ELj100EEvPKT0_PKjPS1_
		.amdhsa_group_segment_fixed_size 6144
		.amdhsa_private_segment_fixed_size 0
		.amdhsa_kernarg_size 24
		.amdhsa_user_sgpr_count 15
		.amdhsa_user_sgpr_dispatch_ptr 0
		.amdhsa_user_sgpr_queue_ptr 0
		.amdhsa_user_sgpr_kernarg_segment_ptr 1
		.amdhsa_user_sgpr_dispatch_id 0
		.amdhsa_user_sgpr_private_segment_size 0
		.amdhsa_wavefront_size32 1
		.amdhsa_uses_dynamic_stack 0
		.amdhsa_enable_private_segment 0
		.amdhsa_system_sgpr_workgroup_id_x 1
		.amdhsa_system_sgpr_workgroup_id_y 0
		.amdhsa_system_sgpr_workgroup_id_z 0
		.amdhsa_system_sgpr_workgroup_info 0
		.amdhsa_system_vgpr_workitem_id 0
		.amdhsa_next_free_vgpr 10
		.amdhsa_next_free_sgpr 16
		.amdhsa_reserve_vcc 1
		.amdhsa_float_round_mode_32 0
		.amdhsa_float_round_mode_16_64 0
		.amdhsa_float_denorm_mode_32 3
		.amdhsa_float_denorm_mode_16_64 3
		.amdhsa_dx10_clamp 1
		.amdhsa_ieee_mode 1
		.amdhsa_fp16_overflow 0
		.amdhsa_workgroup_processor_mode 1
		.amdhsa_memory_ordered 1
		.amdhsa_forward_progress 0
		.amdhsa_shared_vgpr_count 0
		.amdhsa_exception_fp_ieee_invalid_op 0
		.amdhsa_exception_fp_denorm_src 0
		.amdhsa_exception_fp_ieee_div_zero 0
		.amdhsa_exception_fp_ieee_overflow 0
		.amdhsa_exception_fp_ieee_underflow 0
		.amdhsa_exception_fp_ieee_inexact 0
		.amdhsa_exception_int_div_zero 0
	.end_amdhsa_kernel
	.section	.text._Z6kernelI18scatter_to_blockedxLj256ELj3ELj100EEvPKT0_PKjPS1_,"axG",@progbits,_Z6kernelI18scatter_to_blockedxLj256ELj3ELj100EEvPKT0_PKjPS1_,comdat
.Lfunc_end134:
	.size	_Z6kernelI18scatter_to_blockedxLj256ELj3ELj100EEvPKT0_PKjPS1_, .Lfunc_end134-_Z6kernelI18scatter_to_blockedxLj256ELj3ELj100EEvPKT0_PKjPS1_
                                        ; -- End function
	.section	.AMDGPU.csdata,"",@progbits
; Kernel info:
; codeLenInByte = 332
; NumSgprs: 18
; NumVgprs: 10
; ScratchSize: 0
; MemoryBound: 0
; FloatMode: 240
; IeeeMode: 1
; LDSByteSize: 6144 bytes/workgroup (compile time only)
; SGPRBlocks: 2
; VGPRBlocks: 1
; NumSGPRsForWavesPerEU: 18
; NumVGPRsForWavesPerEU: 10
; Occupancy: 16
; WaveLimiterHint : 1
; COMPUTE_PGM_RSRC2:SCRATCH_EN: 0
; COMPUTE_PGM_RSRC2:USER_SGPR: 15
; COMPUTE_PGM_RSRC2:TRAP_HANDLER: 0
; COMPUTE_PGM_RSRC2:TGID_X_EN: 1
; COMPUTE_PGM_RSRC2:TGID_Y_EN: 0
; COMPUTE_PGM_RSRC2:TGID_Z_EN: 0
; COMPUTE_PGM_RSRC2:TIDIG_COMP_CNT: 0
	.section	.text._Z6kernelI18scatter_to_blockedxLj256ELj4ELj100EEvPKT0_PKjPS1_,"axG",@progbits,_Z6kernelI18scatter_to_blockedxLj256ELj4ELj100EEvPKT0_PKjPS1_,comdat
	.protected	_Z6kernelI18scatter_to_blockedxLj256ELj4ELj100EEvPKT0_PKjPS1_ ; -- Begin function _Z6kernelI18scatter_to_blockedxLj256ELj4ELj100EEvPKT0_PKjPS1_
	.globl	_Z6kernelI18scatter_to_blockedxLj256ELj4ELj100EEvPKT0_PKjPS1_
	.p2align	8
	.type	_Z6kernelI18scatter_to_blockedxLj256ELj4ELj100EEvPKT0_PKjPS1_,@function
_Z6kernelI18scatter_to_blockedxLj256ELj4ELj100EEvPKT0_PKjPS1_: ; @_Z6kernelI18scatter_to_blockedxLj256ELj4ELj100EEvPKT0_PKjPS1_
; %bb.0:
	s_load_b128 s[4:7], s[0:1], 0x0
	s_mov_b32 s9, 0
	s_lshl_b32 s8, s15, 10
	v_lshlrev_b32_e32 v9, 2, v0
	s_lshl_b64 s[2:3], s[8:9], 3
	v_lshlrev_b32_e32 v3, 3, v0
	s_load_b64 s[0:1], s[0:1], 0x10
	v_lshrrev_b32_e32 v18, 3, v0
	s_waitcnt lgkmcnt(0)
	s_add_u32 s4, s4, s2
	s_addc_u32 s5, s5, s3
	s_lshl_b64 s[8:9], s[8:9], 2
	s_delay_alu instid0(SALU_CYCLE_1)
	s_add_u32 s6, s6, s8
	s_addc_u32 s7, s7, s9
	s_clause 0x3
	global_load_b32 v10, v9, s[6:7]
	global_load_b32 v11, v9, s[6:7] offset:1024
	global_load_b32 v12, v9, s[6:7] offset:2048
	;; [unrolled: 1-line block ×3, first 2 shown]
	v_add_co_u32 v1, s6, s4, v3
	s_delay_alu instid0(VALU_DEP_1) | instskip(NEXT) | instid1(VALU_DEP_2)
	v_add_co_ci_u32_e64 v2, null, s5, 0, s6
	v_add_co_u32 v7, vcc_lo, 0x1000, v1
	s_delay_alu instid0(VALU_DEP_2)
	v_add_co_ci_u32_e32 v8, vcc_lo, 0, v2, vcc_lo
	s_clause 0x3
	global_load_b64 v[1:2], v3, s[4:5]
	global_load_b64 v[3:4], v3, s[4:5] offset:2048
	global_load_b64 v[5:6], v[7:8], off
	global_load_b64 v[7:8], v[7:8], off offset:2048
	s_movk_i32 s4, 0x64
	s_waitcnt vmcnt(7)
	v_lshrrev_b32_e32 v14, 2, v10
	s_waitcnt vmcnt(6)
	v_lshrrev_b32_e32 v15, 2, v11
	;; [unrolled: 2-line block ×4, first 2 shown]
	v_and_b32_e32 v14, 0x3ffffff8, v14
	v_and_b32_e32 v15, 0x3ffffff8, v15
	;; [unrolled: 1-line block ×3, first 2 shown]
	s_delay_alu instid0(VALU_DEP_4) | instskip(NEXT) | instid1(VALU_DEP_4)
	v_and_b32_e32 v17, 0x3ffffff8, v17
	v_lshl_add_u32 v0, v10, 3, v14
	s_delay_alu instid0(VALU_DEP_4) | instskip(NEXT) | instid1(VALU_DEP_4)
	v_lshl_add_u32 v10, v11, 3, v15
	v_lshl_add_u32 v11, v12, 3, v16
	s_delay_alu instid0(VALU_DEP_4)
	v_lshl_add_u32 v12, v13, 3, v17
	v_add_lshl_u32 v13, v18, v9, 3
	.p2align	6
.LBB135_1:                              ; =>This Inner Loop Header: Depth=1
	s_waitcnt vmcnt(3)
	ds_store_b64 v0, v[1:2]
	s_waitcnt vmcnt(2)
	ds_store_b64 v10, v[3:4]
	;; [unrolled: 2-line block ×4, first 2 shown]
	s_waitcnt lgkmcnt(0)
	s_barrier
	buffer_gl0_inv
	ds_load_2addr_b64 v[1:4], v13 offset1:1
	ds_load_2addr_b64 v[5:8], v13 offset0:2 offset1:3
	s_add_i32 s4, s4, -1
	s_waitcnt lgkmcnt(0)
	s_cmp_lg_u32 s4, 0
	s_barrier
	buffer_gl0_inv
	s_cbranch_scc1 .LBB135_1
; %bb.2:
	v_lshlrev_b32_e32 v0, 3, v9
	s_add_u32 s0, s0, s2
	s_addc_u32 s1, s1, s3
	s_clause 0x1
	global_store_b128 v0, v[1:4], s[0:1]
	global_store_b128 v0, v[5:8], s[0:1] offset:16
	s_nop 0
	s_sendmsg sendmsg(MSG_DEALLOC_VGPRS)
	s_endpgm
	.section	.rodata,"a",@progbits
	.p2align	6, 0x0
	.amdhsa_kernel _Z6kernelI18scatter_to_blockedxLj256ELj4ELj100EEvPKT0_PKjPS1_
		.amdhsa_group_segment_fixed_size 8448
		.amdhsa_private_segment_fixed_size 0
		.amdhsa_kernarg_size 24
		.amdhsa_user_sgpr_count 15
		.amdhsa_user_sgpr_dispatch_ptr 0
		.amdhsa_user_sgpr_queue_ptr 0
		.amdhsa_user_sgpr_kernarg_segment_ptr 1
		.amdhsa_user_sgpr_dispatch_id 0
		.amdhsa_user_sgpr_private_segment_size 0
		.amdhsa_wavefront_size32 1
		.amdhsa_uses_dynamic_stack 0
		.amdhsa_enable_private_segment 0
		.amdhsa_system_sgpr_workgroup_id_x 1
		.amdhsa_system_sgpr_workgroup_id_y 0
		.amdhsa_system_sgpr_workgroup_id_z 0
		.amdhsa_system_sgpr_workgroup_info 0
		.amdhsa_system_vgpr_workitem_id 0
		.amdhsa_next_free_vgpr 19
		.amdhsa_next_free_sgpr 16
		.amdhsa_reserve_vcc 1
		.amdhsa_float_round_mode_32 0
		.amdhsa_float_round_mode_16_64 0
		.amdhsa_float_denorm_mode_32 3
		.amdhsa_float_denorm_mode_16_64 3
		.amdhsa_dx10_clamp 1
		.amdhsa_ieee_mode 1
		.amdhsa_fp16_overflow 0
		.amdhsa_workgroup_processor_mode 1
		.amdhsa_memory_ordered 1
		.amdhsa_forward_progress 0
		.amdhsa_shared_vgpr_count 0
		.amdhsa_exception_fp_ieee_invalid_op 0
		.amdhsa_exception_fp_denorm_src 0
		.amdhsa_exception_fp_ieee_div_zero 0
		.amdhsa_exception_fp_ieee_overflow 0
		.amdhsa_exception_fp_ieee_underflow 0
		.amdhsa_exception_fp_ieee_inexact 0
		.amdhsa_exception_int_div_zero 0
	.end_amdhsa_kernel
	.section	.text._Z6kernelI18scatter_to_blockedxLj256ELj4ELj100EEvPKT0_PKjPS1_,"axG",@progbits,_Z6kernelI18scatter_to_blockedxLj256ELj4ELj100EEvPKT0_PKjPS1_,comdat
.Lfunc_end135:
	.size	_Z6kernelI18scatter_to_blockedxLj256ELj4ELj100EEvPKT0_PKjPS1_, .Lfunc_end135-_Z6kernelI18scatter_to_blockedxLj256ELj4ELj100EEvPKT0_PKjPS1_
                                        ; -- End function
	.section	.AMDGPU.csdata,"",@progbits
; Kernel info:
; codeLenInByte = 452
; NumSgprs: 18
; NumVgprs: 19
; ScratchSize: 0
; MemoryBound: 0
; FloatMode: 240
; IeeeMode: 1
; LDSByteSize: 8448 bytes/workgroup (compile time only)
; SGPRBlocks: 2
; VGPRBlocks: 2
; NumSGPRsForWavesPerEU: 18
; NumVGPRsForWavesPerEU: 19
; Occupancy: 16
; WaveLimiterHint : 1
; COMPUTE_PGM_RSRC2:SCRATCH_EN: 0
; COMPUTE_PGM_RSRC2:USER_SGPR: 15
; COMPUTE_PGM_RSRC2:TRAP_HANDLER: 0
; COMPUTE_PGM_RSRC2:TGID_X_EN: 1
; COMPUTE_PGM_RSRC2:TGID_Y_EN: 0
; COMPUTE_PGM_RSRC2:TGID_Z_EN: 0
; COMPUTE_PGM_RSRC2:TIDIG_COMP_CNT: 0
	.section	.text._Z6kernelI18scatter_to_blockedxLj256ELj7ELj100EEvPKT0_PKjPS1_,"axG",@progbits,_Z6kernelI18scatter_to_blockedxLj256ELj7ELj100EEvPKT0_PKjPS1_,comdat
	.protected	_Z6kernelI18scatter_to_blockedxLj256ELj7ELj100EEvPKT0_PKjPS1_ ; -- Begin function _Z6kernelI18scatter_to_blockedxLj256ELj7ELj100EEvPKT0_PKjPS1_
	.globl	_Z6kernelI18scatter_to_blockedxLj256ELj7ELj100EEvPKT0_PKjPS1_
	.p2align	8
	.type	_Z6kernelI18scatter_to_blockedxLj256ELj7ELj100EEvPKT0_PKjPS1_,@function
_Z6kernelI18scatter_to_blockedxLj256ELj7ELj100EEvPKT0_PKjPS1_: ; @_Z6kernelI18scatter_to_blockedxLj256ELj7ELj100EEvPKT0_PKjPS1_
; %bb.0:
	s_load_b128 s[4:7], s[0:1], 0x0
	s_mov_b32 s9, 0
	s_mul_i32 s8, s15, 0x700
	v_lshlrev_b32_e32 v11, 3, v0
	s_lshl_b64 s[2:3], s[8:9], 3
	v_lshlrev_b32_e32 v12, 2, v0
	s_load_b64 s[0:1], s[0:1], 0x10
	v_mul_u32_u24_e32 v0, 7, v0
	s_delay_alu instid0(VALU_DEP_1) | instskip(SKIP_4) | instid1(VALU_DEP_1)
	v_lshlrev_b32_e32 v0, 3, v0
	s_waitcnt lgkmcnt(0)
	s_add_u32 s4, s4, s2
	s_addc_u32 s5, s5, s3
	v_add_co_u32 v13, s10, s4, v11
	v_add_co_ci_u32_e64 v14, null, s5, 0, s10
	s_lshl_b64 s[8:9], s[8:9], 2
	s_delay_alu instid0(VALU_DEP_2) | instskip(SKIP_1) | instid1(VALU_DEP_2)
	v_add_co_u32 v3, vcc_lo, 0x1000, v13
	s_add_u32 s6, s6, s8
	v_add_co_ci_u32_e32 v4, vcc_lo, 0, v14, vcc_lo
	v_add_co_u32 v5, vcc_lo, v13, 0x2000
	s_addc_u32 s7, s7, s9
	v_add_co_u32 v9, s8, s6, v12
	v_add_co_ci_u32_e32 v6, vcc_lo, 0, v14, vcc_lo
	v_add_co_ci_u32_e64 v10, null, s7, 0, s8
	v_add_co_u32 v7, vcc_lo, 0x2000, v13
	v_add_co_ci_u32_e32 v8, vcc_lo, 0, v14, vcc_lo
	v_add_co_u32 v9, vcc_lo, 0x1000, v9
	s_delay_alu instid0(VALU_DEP_4)
	v_add_co_ci_u32_e32 v10, vcc_lo, 0, v10, vcc_lo
	v_add_co_u32 v13, vcc_lo, 0x3000, v13
	s_clause 0x1
	global_load_b64 v[1:2], v[5:6], off offset:-4096
	global_load_b64 v[5:6], v[5:6], off
	s_clause 0x6
	global_load_b32 v15, v12, s[6:7]
	global_load_b32 v16, v12, s[6:7] offset:1024
	global_load_b32 v17, v12, s[6:7] offset:2048
	;; [unrolled: 1-line block ×3, first 2 shown]
	global_load_b32 v19, v[9:10], off
	global_load_b32 v20, v[9:10], off offset:1024
	global_load_b32 v21, v[9:10], off offset:2048
	v_add_co_ci_u32_e32 v14, vcc_lo, 0, v14, vcc_lo
	s_clause 0x4
	global_load_b64 v[9:10], v11, s[4:5]
	global_load_b64 v[11:12], v11, s[4:5] offset:2048
	global_load_b64 v[3:4], v[3:4], off offset:2048
	global_load_b64 v[7:8], v[7:8], off offset:2048
	global_load_b64 v[13:14], v[13:14], off
	s_movk_i32 s4, 0x64
	s_waitcnt vmcnt(11)
	v_lshlrev_b32_e32 v15, 3, v15
	s_waitcnt vmcnt(10)
	v_lshlrev_b32_e32 v16, 3, v16
	;; [unrolled: 2-line block ×7, first 2 shown]
	.p2align	6
.LBB136_1:                              ; =>This Inner Loop Header: Depth=1
	s_waitcnt vmcnt(4)
	ds_store_b64 v15, v[9:10]
	s_waitcnt vmcnt(3)
	ds_store_b64 v16, v[11:12]
	ds_store_b64 v17, v[1:2]
	s_waitcnt vmcnt(2)
	ds_store_b64 v18, v[3:4]
	;; [unrolled: 3-line block ×3, first 2 shown]
	s_waitcnt vmcnt(0)
	ds_store_b64 v21, v[13:14]
	s_waitcnt lgkmcnt(0)
	s_barrier
	buffer_gl0_inv
	ds_load_2addr_b64 v[9:12], v0 offset1:1
	ds_load_2addr_b64 v[1:4], v0 offset0:2 offset1:3
	ds_load_2addr_b64 v[5:8], v0 offset0:4 offset1:5
	ds_load_b64 v[13:14], v0 offset:48
	s_add_i32 s4, s4, -1
	s_waitcnt lgkmcnt(0)
	s_cmp_lg_u32 s4, 0
	s_barrier
	buffer_gl0_inv
	s_cbranch_scc1 .LBB136_1
; %bb.2:
	s_add_u32 s0, s0, s2
	s_addc_u32 s1, s1, s3
	s_clause 0x3
	global_store_b128 v0, v[9:12], s[0:1]
	global_store_b128 v0, v[1:4], s[0:1] offset:16
	global_store_b128 v0, v[5:8], s[0:1] offset:32
	global_store_b64 v0, v[13:14], s[0:1] offset:48
	s_nop 0
	s_sendmsg sendmsg(MSG_DEALLOC_VGPRS)
	s_endpgm
	.section	.rodata,"a",@progbits
	.p2align	6, 0x0
	.amdhsa_kernel _Z6kernelI18scatter_to_blockedxLj256ELj7ELj100EEvPKT0_PKjPS1_
		.amdhsa_group_segment_fixed_size 14336
		.amdhsa_private_segment_fixed_size 0
		.amdhsa_kernarg_size 24
		.amdhsa_user_sgpr_count 15
		.amdhsa_user_sgpr_dispatch_ptr 0
		.amdhsa_user_sgpr_queue_ptr 0
		.amdhsa_user_sgpr_kernarg_segment_ptr 1
		.amdhsa_user_sgpr_dispatch_id 0
		.amdhsa_user_sgpr_private_segment_size 0
		.amdhsa_wavefront_size32 1
		.amdhsa_uses_dynamic_stack 0
		.amdhsa_enable_private_segment 0
		.amdhsa_system_sgpr_workgroup_id_x 1
		.amdhsa_system_sgpr_workgroup_id_y 0
		.amdhsa_system_sgpr_workgroup_id_z 0
		.amdhsa_system_sgpr_workgroup_info 0
		.amdhsa_system_vgpr_workitem_id 0
		.amdhsa_next_free_vgpr 22
		.amdhsa_next_free_sgpr 16
		.amdhsa_reserve_vcc 1
		.amdhsa_float_round_mode_32 0
		.amdhsa_float_round_mode_16_64 0
		.amdhsa_float_denorm_mode_32 3
		.amdhsa_float_denorm_mode_16_64 3
		.amdhsa_dx10_clamp 1
		.amdhsa_ieee_mode 1
		.amdhsa_fp16_overflow 0
		.amdhsa_workgroup_processor_mode 1
		.amdhsa_memory_ordered 1
		.amdhsa_forward_progress 0
		.amdhsa_shared_vgpr_count 0
		.amdhsa_exception_fp_ieee_invalid_op 0
		.amdhsa_exception_fp_denorm_src 0
		.amdhsa_exception_fp_ieee_div_zero 0
		.amdhsa_exception_fp_ieee_overflow 0
		.amdhsa_exception_fp_ieee_underflow 0
		.amdhsa_exception_fp_ieee_inexact 0
		.amdhsa_exception_int_div_zero 0
	.end_amdhsa_kernel
	.section	.text._Z6kernelI18scatter_to_blockedxLj256ELj7ELj100EEvPKT0_PKjPS1_,"axG",@progbits,_Z6kernelI18scatter_to_blockedxLj256ELj7ELj100EEvPKT0_PKjPS1_,comdat
.Lfunc_end136:
	.size	_Z6kernelI18scatter_to_blockedxLj256ELj7ELj100EEvPKT0_PKjPS1_, .Lfunc_end136-_Z6kernelI18scatter_to_blockedxLj256ELj7ELj100EEvPKT0_PKjPS1_
                                        ; -- End function
	.section	.AMDGPU.csdata,"",@progbits
; Kernel info:
; codeLenInByte = 588
; NumSgprs: 18
; NumVgprs: 22
; ScratchSize: 0
; MemoryBound: 1
; FloatMode: 240
; IeeeMode: 1
; LDSByteSize: 14336 bytes/workgroup (compile time only)
; SGPRBlocks: 2
; VGPRBlocks: 2
; NumSGPRsForWavesPerEU: 18
; NumVGPRsForWavesPerEU: 22
; Occupancy: 16
; WaveLimiterHint : 1
; COMPUTE_PGM_RSRC2:SCRATCH_EN: 0
; COMPUTE_PGM_RSRC2:USER_SGPR: 15
; COMPUTE_PGM_RSRC2:TRAP_HANDLER: 0
; COMPUTE_PGM_RSRC2:TGID_X_EN: 1
; COMPUTE_PGM_RSRC2:TGID_Y_EN: 0
; COMPUTE_PGM_RSRC2:TGID_Z_EN: 0
; COMPUTE_PGM_RSRC2:TIDIG_COMP_CNT: 0
	.section	.text._Z6kernelI18scatter_to_blockedxLj256ELj8ELj100EEvPKT0_PKjPS1_,"axG",@progbits,_Z6kernelI18scatter_to_blockedxLj256ELj8ELj100EEvPKT0_PKjPS1_,comdat
	.protected	_Z6kernelI18scatter_to_blockedxLj256ELj8ELj100EEvPKT0_PKjPS1_ ; -- Begin function _Z6kernelI18scatter_to_blockedxLj256ELj8ELj100EEvPKT0_PKjPS1_
	.globl	_Z6kernelI18scatter_to_blockedxLj256ELj8ELj100EEvPKT0_PKjPS1_
	.p2align	8
	.type	_Z6kernelI18scatter_to_blockedxLj256ELj8ELj100EEvPKT0_PKjPS1_,@function
_Z6kernelI18scatter_to_blockedxLj256ELj8ELj100EEvPKT0_PKjPS1_: ; @_Z6kernelI18scatter_to_blockedxLj256ELj8ELj100EEvPKT0_PKjPS1_
; %bb.0:
	s_load_b128 s[4:7], s[0:1], 0x0
	s_mov_b32 s9, 0
	s_lshl_b32 s8, s15, 11
	v_lshlrev_b32_e32 v17, 3, v0
	s_lshl_b64 s[2:3], s[8:9], 3
	v_lshlrev_b32_e32 v5, 2, v0
	s_load_b64 s[0:1], s[0:1], 0x10
	v_lshrrev_b32_e32 v30, 2, v0
	s_waitcnt lgkmcnt(0)
	s_add_u32 s4, s4, s2
	s_addc_u32 s5, s5, s3
	s_lshl_b64 s[8:9], s[8:9], 2
	v_add_co_u32 v13, s10, s4, v17
	s_clause 0x1
	global_load_b64 v[1:2], v17, s[4:5]
	global_load_b64 v[3:4], v17, s[4:5] offset:2048
	s_add_u32 s4, s6, s8
	v_add_co_ci_u32_e64 v14, null, s5, 0, s10
	s_addc_u32 s5, s7, s9
	v_add_co_u32 v6, s6, s4, v5
	s_delay_alu instid0(VALU_DEP_1)
	v_add_co_ci_u32_e64 v7, null, s5, 0, s6
	s_clause 0x3
	global_load_b32 v18, v5, s[4:5]
	global_load_b32 v19, v5, s[4:5] offset:1024
	global_load_b32 v20, v5, s[4:5] offset:2048
	;; [unrolled: 1-line block ×3, first 2 shown]
	v_add_co_u32 v5, vcc_lo, 0x1000, v6
	v_add_co_ci_u32_e32 v6, vcc_lo, 0, v7, vcc_lo
	v_add_co_u32 v7, vcc_lo, 0x1000, v13
	s_clause 0x3
	global_load_b32 v22, v[5:6], off
	global_load_b32 v23, v[5:6], off offset:1024
	global_load_b32 v24, v[5:6], off offset:2048
	;; [unrolled: 1-line block ×3, first 2 shown]
	v_add_co_ci_u32_e32 v8, vcc_lo, 0, v14, vcc_lo
	v_add_co_u32 v9, vcc_lo, v13, 0x2000
	v_add_co_ci_u32_e32 v10, vcc_lo, 0, v14, vcc_lo
	v_add_co_u32 v11, vcc_lo, 0x2000, v13
	;; [unrolled: 2-line block ×3, first 2 shown]
	v_add_co_ci_u32_e32 v16, vcc_lo, 0, v14, vcc_lo
	s_clause 0x5
	global_load_b64 v[5:6], v[9:10], off offset:-4096
	global_load_b64 v[9:10], v[9:10], off
	global_load_b64 v[7:8], v[7:8], off offset:2048
	global_load_b64 v[11:12], v[11:12], off offset:2048
	global_load_b64 v[13:14], v[15:16], off
	global_load_b64 v[15:16], v[15:16], off offset:2048
	s_movk_i32 s4, 0x64
	s_waitcnt vmcnt(13)
	v_lshrrev_b32_e32 v26, 2, v18
	s_waitcnt vmcnt(12)
	v_lshrrev_b32_e32 v27, 2, v19
	;; [unrolled: 2-line block ×4, first 2 shown]
	v_and_b32_e32 v26, 0x3ffffff8, v26
	v_and_b32_e32 v27, 0x3ffffff8, v27
	;; [unrolled: 1-line block ×3, first 2 shown]
	s_delay_alu instid0(VALU_DEP_4) | instskip(NEXT) | instid1(VALU_DEP_4)
	v_and_b32_e32 v29, 0x3ffffff8, v29
	v_lshl_add_u32 v0, v18, 3, v26
	s_delay_alu instid0(VALU_DEP_4)
	v_lshl_add_u32 v18, v19, 3, v27
	s_waitcnt vmcnt(9)
	v_lshrrev_b32_e32 v26, 2, v22
	s_waitcnt vmcnt(8)
	v_lshrrev_b32_e32 v27, 2, v23
	;; [unrolled: 2-line block ×4, first 2 shown]
	v_lshl_add_u32 v19, v20, 3, v28
	v_and_b32_e32 v26, 0x3ffffff8, v26
	v_and_b32_e32 v27, 0x3ffffff8, v27
	;; [unrolled: 1-line block ×4, first 2 shown]
	v_lshl_add_u32 v20, v21, 3, v29
	v_lshl_add_u32 v21, v22, 3, v26
	;; [unrolled: 1-line block ×5, first 2 shown]
	v_add_lshl_u32 v25, v30, v17, 3
	.p2align	6
.LBB137_1:                              ; =>This Inner Loop Header: Depth=1
	ds_store_b64 v0, v[1:2]
	ds_store_b64 v18, v[3:4]
	s_waitcnt vmcnt(5)
	ds_store_b64 v19, v[5:6]
	s_waitcnt vmcnt(3)
	ds_store_b64 v20, v[7:8]
	ds_store_b64 v21, v[9:10]
	s_waitcnt vmcnt(2)
	ds_store_b64 v22, v[11:12]
	s_waitcnt vmcnt(1)
	;; [unrolled: 2-line block ×3, first 2 shown]
	ds_store_b64 v24, v[15:16]
	s_waitcnt lgkmcnt(0)
	s_barrier
	buffer_gl0_inv
	ds_load_2addr_b64 v[1:4], v25 offset1:1
	ds_load_2addr_b64 v[5:8], v25 offset0:2 offset1:3
	ds_load_2addr_b64 v[9:12], v25 offset0:4 offset1:5
	;; [unrolled: 1-line block ×3, first 2 shown]
	s_add_i32 s4, s4, -1
	s_waitcnt lgkmcnt(0)
	s_cmp_lg_u32 s4, 0
	s_barrier
	buffer_gl0_inv
	s_cbranch_scc1 .LBB137_1
; %bb.2:
	v_lshlrev_b32_e32 v0, 3, v17
	s_add_u32 s0, s0, s2
	s_addc_u32 s1, s1, s3
	s_clause 0x3
	global_store_b128 v0, v[1:4], s[0:1]
	global_store_b128 v0, v[5:8], s[0:1] offset:16
	global_store_b128 v0, v[9:12], s[0:1] offset:32
	global_store_b128 v0, v[13:16], s[0:1] offset:48
	s_nop 0
	s_sendmsg sendmsg(MSG_DEALLOC_VGPRS)
	s_endpgm
	.section	.rodata,"a",@progbits
	.p2align	6, 0x0
	.amdhsa_kernel _Z6kernelI18scatter_to_blockedxLj256ELj8ELj100EEvPKT0_PKjPS1_
		.amdhsa_group_segment_fixed_size 16896
		.amdhsa_private_segment_fixed_size 0
		.amdhsa_kernarg_size 24
		.amdhsa_user_sgpr_count 15
		.amdhsa_user_sgpr_dispatch_ptr 0
		.amdhsa_user_sgpr_queue_ptr 0
		.amdhsa_user_sgpr_kernarg_segment_ptr 1
		.amdhsa_user_sgpr_dispatch_id 0
		.amdhsa_user_sgpr_private_segment_size 0
		.amdhsa_wavefront_size32 1
		.amdhsa_uses_dynamic_stack 0
		.amdhsa_enable_private_segment 0
		.amdhsa_system_sgpr_workgroup_id_x 1
		.amdhsa_system_sgpr_workgroup_id_y 0
		.amdhsa_system_sgpr_workgroup_id_z 0
		.amdhsa_system_sgpr_workgroup_info 0
		.amdhsa_system_vgpr_workitem_id 0
		.amdhsa_next_free_vgpr 33
		.amdhsa_next_free_sgpr 16
		.amdhsa_reserve_vcc 1
		.amdhsa_float_round_mode_32 0
		.amdhsa_float_round_mode_16_64 0
		.amdhsa_float_denorm_mode_32 3
		.amdhsa_float_denorm_mode_16_64 3
		.amdhsa_dx10_clamp 1
		.amdhsa_ieee_mode 1
		.amdhsa_fp16_overflow 0
		.amdhsa_workgroup_processor_mode 1
		.amdhsa_memory_ordered 1
		.amdhsa_forward_progress 0
		.amdhsa_shared_vgpr_count 0
		.amdhsa_exception_fp_ieee_invalid_op 0
		.amdhsa_exception_fp_denorm_src 0
		.amdhsa_exception_fp_ieee_div_zero 0
		.amdhsa_exception_fp_ieee_overflow 0
		.amdhsa_exception_fp_ieee_underflow 0
		.amdhsa_exception_fp_ieee_inexact 0
		.amdhsa_exception_int_div_zero 0
	.end_amdhsa_kernel
	.section	.text._Z6kernelI18scatter_to_blockedxLj256ELj8ELj100EEvPKT0_PKjPS1_,"axG",@progbits,_Z6kernelI18scatter_to_blockedxLj256ELj8ELj100EEvPKT0_PKjPS1_,comdat
.Lfunc_end137:
	.size	_Z6kernelI18scatter_to_blockedxLj256ELj8ELj100EEvPKT0_PKjPS1_, .Lfunc_end137-_Z6kernelI18scatter_to_blockedxLj256ELj8ELj100EEvPKT0_PKjPS1_
                                        ; -- End function
	.section	.AMDGPU.csdata,"",@progbits
; Kernel info:
; codeLenInByte = 756
; NumSgprs: 18
; NumVgprs: 33
; ScratchSize: 0
; MemoryBound: 0
; FloatMode: 240
; IeeeMode: 1
; LDSByteSize: 16896 bytes/workgroup (compile time only)
; SGPRBlocks: 2
; VGPRBlocks: 4
; NumSGPRsForWavesPerEU: 18
; NumVGPRsForWavesPerEU: 33
; Occupancy: 14
; WaveLimiterHint : 1
; COMPUTE_PGM_RSRC2:SCRATCH_EN: 0
; COMPUTE_PGM_RSRC2:USER_SGPR: 15
; COMPUTE_PGM_RSRC2:TRAP_HANDLER: 0
; COMPUTE_PGM_RSRC2:TGID_X_EN: 1
; COMPUTE_PGM_RSRC2:TGID_Y_EN: 0
; COMPUTE_PGM_RSRC2:TGID_Z_EN: 0
; COMPUTE_PGM_RSRC2:TIDIG_COMP_CNT: 0
	.section	.text._Z6kernelI18scatter_to_blockedN15benchmark_utils11custom_typeIffEELj256ELj1ELj100EEvPKT0_PKjPS4_,"axG",@progbits,_Z6kernelI18scatter_to_blockedN15benchmark_utils11custom_typeIffEELj256ELj1ELj100EEvPKT0_PKjPS4_,comdat
	.protected	_Z6kernelI18scatter_to_blockedN15benchmark_utils11custom_typeIffEELj256ELj1ELj100EEvPKT0_PKjPS4_ ; -- Begin function _Z6kernelI18scatter_to_blockedN15benchmark_utils11custom_typeIffEELj256ELj1ELj100EEvPKT0_PKjPS4_
	.globl	_Z6kernelI18scatter_to_blockedN15benchmark_utils11custom_typeIffEELj256ELj1ELj100EEvPKT0_PKjPS4_
	.p2align	8
	.type	_Z6kernelI18scatter_to_blockedN15benchmark_utils11custom_typeIffEELj256ELj1ELj100EEvPKT0_PKjPS4_,@function
_Z6kernelI18scatter_to_blockedN15benchmark_utils11custom_typeIffEELj256ELj1ELj100EEvPKT0_PKjPS4_: ; @_Z6kernelI18scatter_to_blockedN15benchmark_utils11custom_typeIffEELj256ELj1ELj100EEvPKT0_PKjPS4_
; %bb.0:
	s_load_b128 s[4:7], s[0:1], 0x0
	s_mov_b32 s9, 0
	s_lshl_b32 s8, s15, 8
	v_lshlrev_b32_e32 v1, 2, v0
	s_lshl_b64 s[2:3], s[8:9], 3
	v_lshlrev_b32_e32 v3, 3, v0
	s_load_b64 s[0:1], s[0:1], 0x10
	s_waitcnt lgkmcnt(0)
	s_add_u32 s4, s4, s2
	s_addc_u32 s5, s5, s3
	s_lshl_b64 s[8:9], s[8:9], 2
	s_delay_alu instid0(SALU_CYCLE_1)
	s_add_u32 s6, s6, s8
	s_addc_u32 s7, s7, s9
	global_load_b32 v4, v1, s[6:7]
	global_load_b64 v[1:2], v3, s[4:5]
	s_movk_i32 s4, 0x64
	s_waitcnt vmcnt(1)
	v_lshlrev_b32_e32 v4, 3, v4
.LBB138_1:                              ; =>This Inner Loop Header: Depth=1
	s_waitcnt vmcnt(0)
	ds_store_b64 v4, v[1:2]
	s_waitcnt lgkmcnt(0)
	s_barrier
	buffer_gl0_inv
	ds_load_b64 v[1:2], v3
	s_add_i32 s4, s4, -1
	s_waitcnt lgkmcnt(0)
	s_cmp_lg_u32 s4, 0
	s_barrier
	buffer_gl0_inv
	s_cbranch_scc1 .LBB138_1
; %bb.2:
	v_lshlrev_b32_e32 v0, 3, v0
	s_add_u32 s0, s0, s2
	s_addc_u32 s1, s1, s3
	global_store_b64 v0, v[1:2], s[0:1]
	s_nop 0
	s_sendmsg sendmsg(MSG_DEALLOC_VGPRS)
	s_endpgm
	.section	.rodata,"a",@progbits
	.p2align	6, 0x0
	.amdhsa_kernel _Z6kernelI18scatter_to_blockedN15benchmark_utils11custom_typeIffEELj256ELj1ELj100EEvPKT0_PKjPS4_
		.amdhsa_group_segment_fixed_size 2048
		.amdhsa_private_segment_fixed_size 0
		.amdhsa_kernarg_size 24
		.amdhsa_user_sgpr_count 15
		.amdhsa_user_sgpr_dispatch_ptr 0
		.amdhsa_user_sgpr_queue_ptr 0
		.amdhsa_user_sgpr_kernarg_segment_ptr 1
		.amdhsa_user_sgpr_dispatch_id 0
		.amdhsa_user_sgpr_private_segment_size 0
		.amdhsa_wavefront_size32 1
		.amdhsa_uses_dynamic_stack 0
		.amdhsa_enable_private_segment 0
		.amdhsa_system_sgpr_workgroup_id_x 1
		.amdhsa_system_sgpr_workgroup_id_y 0
		.amdhsa_system_sgpr_workgroup_id_z 0
		.amdhsa_system_sgpr_workgroup_info 0
		.amdhsa_system_vgpr_workitem_id 0
		.amdhsa_next_free_vgpr 5
		.amdhsa_next_free_sgpr 16
		.amdhsa_reserve_vcc 0
		.amdhsa_float_round_mode_32 0
		.amdhsa_float_round_mode_16_64 0
		.amdhsa_float_denorm_mode_32 3
		.amdhsa_float_denorm_mode_16_64 3
		.amdhsa_dx10_clamp 1
		.amdhsa_ieee_mode 1
		.amdhsa_fp16_overflow 0
		.amdhsa_workgroup_processor_mode 1
		.amdhsa_memory_ordered 1
		.amdhsa_forward_progress 0
		.amdhsa_shared_vgpr_count 0
		.amdhsa_exception_fp_ieee_invalid_op 0
		.amdhsa_exception_fp_denorm_src 0
		.amdhsa_exception_fp_ieee_div_zero 0
		.amdhsa_exception_fp_ieee_overflow 0
		.amdhsa_exception_fp_ieee_underflow 0
		.amdhsa_exception_fp_ieee_inexact 0
		.amdhsa_exception_int_div_zero 0
	.end_amdhsa_kernel
	.section	.text._Z6kernelI18scatter_to_blockedN15benchmark_utils11custom_typeIffEELj256ELj1ELj100EEvPKT0_PKjPS4_,"axG",@progbits,_Z6kernelI18scatter_to_blockedN15benchmark_utils11custom_typeIffEELj256ELj1ELj100EEvPKT0_PKjPS4_,comdat
.Lfunc_end138:
	.size	_Z6kernelI18scatter_to_blockedN15benchmark_utils11custom_typeIffEELj256ELj1ELj100EEvPKT0_PKjPS4_, .Lfunc_end138-_Z6kernelI18scatter_to_blockedN15benchmark_utils11custom_typeIffEELj256ELj1ELj100EEvPKT0_PKjPS4_
                                        ; -- End function
	.section	.AMDGPU.csdata,"",@progbits
; Kernel info:
; codeLenInByte = 188
; NumSgprs: 16
; NumVgprs: 5
; ScratchSize: 0
; MemoryBound: 0
; FloatMode: 240
; IeeeMode: 1
; LDSByteSize: 2048 bytes/workgroup (compile time only)
; SGPRBlocks: 1
; VGPRBlocks: 0
; NumSGPRsForWavesPerEU: 16
; NumVGPRsForWavesPerEU: 5
; Occupancy: 16
; WaveLimiterHint : 0
; COMPUTE_PGM_RSRC2:SCRATCH_EN: 0
; COMPUTE_PGM_RSRC2:USER_SGPR: 15
; COMPUTE_PGM_RSRC2:TRAP_HANDLER: 0
; COMPUTE_PGM_RSRC2:TGID_X_EN: 1
; COMPUTE_PGM_RSRC2:TGID_Y_EN: 0
; COMPUTE_PGM_RSRC2:TGID_Z_EN: 0
; COMPUTE_PGM_RSRC2:TIDIG_COMP_CNT: 0
	.section	.text._Z6kernelI18scatter_to_blockedN15benchmark_utils11custom_typeIffEELj256ELj2ELj100EEvPKT0_PKjPS4_,"axG",@progbits,_Z6kernelI18scatter_to_blockedN15benchmark_utils11custom_typeIffEELj256ELj2ELj100EEvPKT0_PKjPS4_,comdat
	.protected	_Z6kernelI18scatter_to_blockedN15benchmark_utils11custom_typeIffEELj256ELj2ELj100EEvPKT0_PKjPS4_ ; -- Begin function _Z6kernelI18scatter_to_blockedN15benchmark_utils11custom_typeIffEELj256ELj2ELj100EEvPKT0_PKjPS4_
	.globl	_Z6kernelI18scatter_to_blockedN15benchmark_utils11custom_typeIffEELj256ELj2ELj100EEvPKT0_PKjPS4_
	.p2align	8
	.type	_Z6kernelI18scatter_to_blockedN15benchmark_utils11custom_typeIffEELj256ELj2ELj100EEvPKT0_PKjPS4_,@function
_Z6kernelI18scatter_to_blockedN15benchmark_utils11custom_typeIffEELj256ELj2ELj100EEvPKT0_PKjPS4_: ; @_Z6kernelI18scatter_to_blockedN15benchmark_utils11custom_typeIffEELj256ELj2ELj100EEvPKT0_PKjPS4_
; %bb.0:
	s_load_b128 s[4:7], s[0:1], 0x0
	s_mov_b32 s9, 0
	s_lshl_b32 s8, s15, 9
	v_lshlrev_b32_e32 v1, 2, v0
	s_lshl_b64 s[2:3], s[8:9], 3
	v_lshlrev_b32_e32 v3, 3, v0
	s_load_b64 s[0:1], s[0:1], 0x10
	v_lshlrev_b32_e32 v5, 1, v0
	v_lshrrev_b32_e32 v10, 4, v0
	s_waitcnt lgkmcnt(0)
	s_add_u32 s4, s4, s2
	s_addc_u32 s5, s5, s3
	s_lshl_b64 s[8:9], s[8:9], 2
	s_delay_alu instid0(SALU_CYCLE_1)
	s_add_u32 s6, s6, s8
	s_addc_u32 s7, s7, s9
	s_clause 0x1
	global_load_b32 v6, v1, s[6:7]
	global_load_b32 v7, v1, s[6:7] offset:1024
	s_clause 0x1
	global_load_b64 v[1:2], v3, s[4:5]
	global_load_b64 v[3:4], v3, s[4:5] offset:2048
	s_movk_i32 s4, 0x64
	s_waitcnt vmcnt(3)
	v_lshrrev_b32_e32 v8, 2, v6
	s_waitcnt vmcnt(2)
	v_lshrrev_b32_e32 v9, 2, v7
	s_delay_alu instid0(VALU_DEP_2) | instskip(NEXT) | instid1(VALU_DEP_2)
	v_and_b32_e32 v8, 0x3ffffff8, v8
	v_and_b32_e32 v9, 0x3ffffff8, v9
	s_delay_alu instid0(VALU_DEP_2) | instskip(NEXT) | instid1(VALU_DEP_2)
	v_lshl_add_u32 v0, v6, 3, v8
	v_lshl_add_u32 v6, v7, 3, v9
	v_add_lshl_u32 v7, v10, v5, 3
.LBB139_1:                              ; =>This Inner Loop Header: Depth=1
	s_waitcnt vmcnt(1)
	ds_store_b64 v0, v[1:2]
	s_waitcnt vmcnt(0)
	ds_store_b64 v6, v[3:4]
	s_waitcnt lgkmcnt(0)
	s_barrier
	buffer_gl0_inv
	ds_load_2addr_b64 v[1:4], v7 offset1:1
	s_add_i32 s4, s4, -1
	s_waitcnt lgkmcnt(0)
	s_cmp_lg_u32 s4, 0
	s_barrier
	buffer_gl0_inv
	s_cbranch_scc1 .LBB139_1
; %bb.2:
	v_lshlrev_b32_e32 v0, 3, v5
	s_add_u32 s0, s0, s2
	s_addc_u32 s1, s1, s3
	global_store_b128 v0, v[1:4], s[0:1]
	s_nop 0
	s_sendmsg sendmsg(MSG_DEALLOC_VGPRS)
	s_endpgm
	.section	.rodata,"a",@progbits
	.p2align	6, 0x0
	.amdhsa_kernel _Z6kernelI18scatter_to_blockedN15benchmark_utils11custom_typeIffEELj256ELj2ELj100EEvPKT0_PKjPS4_
		.amdhsa_group_segment_fixed_size 4224
		.amdhsa_private_segment_fixed_size 0
		.amdhsa_kernarg_size 24
		.amdhsa_user_sgpr_count 15
		.amdhsa_user_sgpr_dispatch_ptr 0
		.amdhsa_user_sgpr_queue_ptr 0
		.amdhsa_user_sgpr_kernarg_segment_ptr 1
		.amdhsa_user_sgpr_dispatch_id 0
		.amdhsa_user_sgpr_private_segment_size 0
		.amdhsa_wavefront_size32 1
		.amdhsa_uses_dynamic_stack 0
		.amdhsa_enable_private_segment 0
		.amdhsa_system_sgpr_workgroup_id_x 1
		.amdhsa_system_sgpr_workgroup_id_y 0
		.amdhsa_system_sgpr_workgroup_id_z 0
		.amdhsa_system_sgpr_workgroup_info 0
		.amdhsa_system_vgpr_workitem_id 0
		.amdhsa_next_free_vgpr 11
		.amdhsa_next_free_sgpr 16
		.amdhsa_reserve_vcc 0
		.amdhsa_float_round_mode_32 0
		.amdhsa_float_round_mode_16_64 0
		.amdhsa_float_denorm_mode_32 3
		.amdhsa_float_denorm_mode_16_64 3
		.amdhsa_dx10_clamp 1
		.amdhsa_ieee_mode 1
		.amdhsa_fp16_overflow 0
		.amdhsa_workgroup_processor_mode 1
		.amdhsa_memory_ordered 1
		.amdhsa_forward_progress 0
		.amdhsa_shared_vgpr_count 0
		.amdhsa_exception_fp_ieee_invalid_op 0
		.amdhsa_exception_fp_denorm_src 0
		.amdhsa_exception_fp_ieee_div_zero 0
		.amdhsa_exception_fp_ieee_overflow 0
		.amdhsa_exception_fp_ieee_underflow 0
		.amdhsa_exception_fp_ieee_inexact 0
		.amdhsa_exception_int_div_zero 0
	.end_amdhsa_kernel
	.section	.text._Z6kernelI18scatter_to_blockedN15benchmark_utils11custom_typeIffEELj256ELj2ELj100EEvPKT0_PKjPS4_,"axG",@progbits,_Z6kernelI18scatter_to_blockedN15benchmark_utils11custom_typeIffEELj256ELj2ELj100EEvPKT0_PKjPS4_,comdat
.Lfunc_end139:
	.size	_Z6kernelI18scatter_to_blockedN15benchmark_utils11custom_typeIffEELj256ELj2ELj100EEvPKT0_PKjPS4_, .Lfunc_end139-_Z6kernelI18scatter_to_blockedN15benchmark_utils11custom_typeIffEELj256ELj2ELj100EEvPKT0_PKjPS4_
                                        ; -- End function
	.section	.AMDGPU.csdata,"",@progbits
; Kernel info:
; codeLenInByte = 288
; NumSgprs: 16
; NumVgprs: 11
; ScratchSize: 0
; MemoryBound: 0
; FloatMode: 240
; IeeeMode: 1
; LDSByteSize: 4224 bytes/workgroup (compile time only)
; SGPRBlocks: 1
; VGPRBlocks: 1
; NumSGPRsForWavesPerEU: 16
; NumVGPRsForWavesPerEU: 11
; Occupancy: 16
; WaveLimiterHint : 1
; COMPUTE_PGM_RSRC2:SCRATCH_EN: 0
; COMPUTE_PGM_RSRC2:USER_SGPR: 15
; COMPUTE_PGM_RSRC2:TRAP_HANDLER: 0
; COMPUTE_PGM_RSRC2:TGID_X_EN: 1
; COMPUTE_PGM_RSRC2:TGID_Y_EN: 0
; COMPUTE_PGM_RSRC2:TGID_Z_EN: 0
; COMPUTE_PGM_RSRC2:TIDIG_COMP_CNT: 0
	.section	.text._Z6kernelI18scatter_to_blockedN15benchmark_utils11custom_typeIffEELj256ELj3ELj100EEvPKT0_PKjPS4_,"axG",@progbits,_Z6kernelI18scatter_to_blockedN15benchmark_utils11custom_typeIffEELj256ELj3ELj100EEvPKT0_PKjPS4_,comdat
	.protected	_Z6kernelI18scatter_to_blockedN15benchmark_utils11custom_typeIffEELj256ELj3ELj100EEvPKT0_PKjPS4_ ; -- Begin function _Z6kernelI18scatter_to_blockedN15benchmark_utils11custom_typeIffEELj256ELj3ELj100EEvPKT0_PKjPS4_
	.globl	_Z6kernelI18scatter_to_blockedN15benchmark_utils11custom_typeIffEELj256ELj3ELj100EEvPKT0_PKjPS4_
	.p2align	8
	.type	_Z6kernelI18scatter_to_blockedN15benchmark_utils11custom_typeIffEELj256ELj3ELj100EEvPKT0_PKjPS4_,@function
_Z6kernelI18scatter_to_blockedN15benchmark_utils11custom_typeIffEELj256ELj3ELj100EEvPKT0_PKjPS4_: ; @_Z6kernelI18scatter_to_blockedN15benchmark_utils11custom_typeIffEELj256ELj3ELj100EEvPKT0_PKjPS4_
; %bb.0:
	s_load_b128 s[4:7], s[0:1], 0x0
	s_mov_b32 s9, 0
	s_mul_i32 s8, s15, 0x300
	v_lshlrev_b32_e32 v3, 3, v0
	s_lshl_b64 s[2:3], s[8:9], 3
	v_lshlrev_b32_e32 v1, 2, v0
	s_load_b64 s[0:1], s[0:1], 0x10
	v_mul_u32_u24_e32 v0, 3, v0
	s_delay_alu instid0(VALU_DEP_1) | instskip(SKIP_4) | instid1(SALU_CYCLE_1)
	v_lshlrev_b32_e32 v0, 3, v0
	s_waitcnt lgkmcnt(0)
	s_add_u32 s4, s4, s2
	s_addc_u32 s5, s5, s3
	s_lshl_b64 s[8:9], s[8:9], 2
	s_add_u32 s6, s6, s8
	v_add_co_u32 v2, s8, s4, v3
	s_delay_alu instid0(VALU_DEP_1) | instskip(SKIP_1) | instid1(VALU_DEP_2)
	v_add_co_ci_u32_e64 v4, null, s5, 0, s8
	s_addc_u32 s7, s7, s9
	v_add_co_u32 v5, vcc_lo, 0x1000, v2
	s_clause 0x2
	global_load_b32 v7, v1, s[6:7]
	global_load_b32 v8, v1, s[6:7] offset:1024
	global_load_b32 v9, v1, s[6:7] offset:2048
	v_add_co_ci_u32_e32 v6, vcc_lo, 0, v4, vcc_lo
	s_clause 0x2
	global_load_b64 v[1:2], v3, s[4:5]
	global_load_b64 v[3:4], v3, s[4:5] offset:2048
	global_load_b64 v[5:6], v[5:6], off
	s_movk_i32 s4, 0x64
	s_waitcnt vmcnt(5)
	v_lshlrev_b32_e32 v7, 3, v7
	s_waitcnt vmcnt(4)
	v_lshlrev_b32_e32 v8, 3, v8
	;; [unrolled: 2-line block ×3, first 2 shown]
.LBB140_1:                              ; =>This Inner Loop Header: Depth=1
	s_waitcnt vmcnt(2)
	ds_store_b64 v7, v[1:2]
	s_waitcnt vmcnt(1)
	ds_store_b64 v8, v[3:4]
	;; [unrolled: 2-line block ×3, first 2 shown]
	s_waitcnt lgkmcnt(0)
	s_barrier
	buffer_gl0_inv
	ds_load_2addr_b64 v[1:4], v0 offset1:1
	ds_load_b64 v[5:6], v0 offset:16
	s_add_i32 s4, s4, -1
	s_waitcnt lgkmcnt(0)
	s_cmp_lg_u32 s4, 0
	s_barrier
	buffer_gl0_inv
	s_cbranch_scc1 .LBB140_1
; %bb.2:
	s_add_u32 s0, s0, s2
	s_addc_u32 s1, s1, s3
	s_clause 0x1
	global_store_b128 v0, v[1:4], s[0:1]
	global_store_b64 v0, v[5:6], s[0:1] offset:16
	s_nop 0
	s_sendmsg sendmsg(MSG_DEALLOC_VGPRS)
	s_endpgm
	.section	.rodata,"a",@progbits
	.p2align	6, 0x0
	.amdhsa_kernel _Z6kernelI18scatter_to_blockedN15benchmark_utils11custom_typeIffEELj256ELj3ELj100EEvPKT0_PKjPS4_
		.amdhsa_group_segment_fixed_size 6144
		.amdhsa_private_segment_fixed_size 0
		.amdhsa_kernarg_size 24
		.amdhsa_user_sgpr_count 15
		.amdhsa_user_sgpr_dispatch_ptr 0
		.amdhsa_user_sgpr_queue_ptr 0
		.amdhsa_user_sgpr_kernarg_segment_ptr 1
		.amdhsa_user_sgpr_dispatch_id 0
		.amdhsa_user_sgpr_private_segment_size 0
		.amdhsa_wavefront_size32 1
		.amdhsa_uses_dynamic_stack 0
		.amdhsa_enable_private_segment 0
		.amdhsa_system_sgpr_workgroup_id_x 1
		.amdhsa_system_sgpr_workgroup_id_y 0
		.amdhsa_system_sgpr_workgroup_id_z 0
		.amdhsa_system_sgpr_workgroup_info 0
		.amdhsa_system_vgpr_workitem_id 0
		.amdhsa_next_free_vgpr 10
		.amdhsa_next_free_sgpr 16
		.amdhsa_reserve_vcc 1
		.amdhsa_float_round_mode_32 0
		.amdhsa_float_round_mode_16_64 0
		.amdhsa_float_denorm_mode_32 3
		.amdhsa_float_denorm_mode_16_64 3
		.amdhsa_dx10_clamp 1
		.amdhsa_ieee_mode 1
		.amdhsa_fp16_overflow 0
		.amdhsa_workgroup_processor_mode 1
		.amdhsa_memory_ordered 1
		.amdhsa_forward_progress 0
		.amdhsa_shared_vgpr_count 0
		.amdhsa_exception_fp_ieee_invalid_op 0
		.amdhsa_exception_fp_denorm_src 0
		.amdhsa_exception_fp_ieee_div_zero 0
		.amdhsa_exception_fp_ieee_overflow 0
		.amdhsa_exception_fp_ieee_underflow 0
		.amdhsa_exception_fp_ieee_inexact 0
		.amdhsa_exception_int_div_zero 0
	.end_amdhsa_kernel
	.section	.text._Z6kernelI18scatter_to_blockedN15benchmark_utils11custom_typeIffEELj256ELj3ELj100EEvPKT0_PKjPS4_,"axG",@progbits,_Z6kernelI18scatter_to_blockedN15benchmark_utils11custom_typeIffEELj256ELj3ELj100EEvPKT0_PKjPS4_,comdat
.Lfunc_end140:
	.size	_Z6kernelI18scatter_to_blockedN15benchmark_utils11custom_typeIffEELj256ELj3ELj100EEvPKT0_PKjPS4_, .Lfunc_end140-_Z6kernelI18scatter_to_blockedN15benchmark_utils11custom_typeIffEELj256ELj3ELj100EEvPKT0_PKjPS4_
                                        ; -- End function
	.section	.AMDGPU.csdata,"",@progbits
; Kernel info:
; codeLenInByte = 332
; NumSgprs: 18
; NumVgprs: 10
; ScratchSize: 0
; MemoryBound: 0
; FloatMode: 240
; IeeeMode: 1
; LDSByteSize: 6144 bytes/workgroup (compile time only)
; SGPRBlocks: 2
; VGPRBlocks: 1
; NumSGPRsForWavesPerEU: 18
; NumVGPRsForWavesPerEU: 10
; Occupancy: 16
; WaveLimiterHint : 1
; COMPUTE_PGM_RSRC2:SCRATCH_EN: 0
; COMPUTE_PGM_RSRC2:USER_SGPR: 15
; COMPUTE_PGM_RSRC2:TRAP_HANDLER: 0
; COMPUTE_PGM_RSRC2:TGID_X_EN: 1
; COMPUTE_PGM_RSRC2:TGID_Y_EN: 0
; COMPUTE_PGM_RSRC2:TGID_Z_EN: 0
; COMPUTE_PGM_RSRC2:TIDIG_COMP_CNT: 0
	.section	.text._Z6kernelI18scatter_to_blockedN15benchmark_utils11custom_typeIffEELj256ELj4ELj100EEvPKT0_PKjPS4_,"axG",@progbits,_Z6kernelI18scatter_to_blockedN15benchmark_utils11custom_typeIffEELj256ELj4ELj100EEvPKT0_PKjPS4_,comdat
	.protected	_Z6kernelI18scatter_to_blockedN15benchmark_utils11custom_typeIffEELj256ELj4ELj100EEvPKT0_PKjPS4_ ; -- Begin function _Z6kernelI18scatter_to_blockedN15benchmark_utils11custom_typeIffEELj256ELj4ELj100EEvPKT0_PKjPS4_
	.globl	_Z6kernelI18scatter_to_blockedN15benchmark_utils11custom_typeIffEELj256ELj4ELj100EEvPKT0_PKjPS4_
	.p2align	8
	.type	_Z6kernelI18scatter_to_blockedN15benchmark_utils11custom_typeIffEELj256ELj4ELj100EEvPKT0_PKjPS4_,@function
_Z6kernelI18scatter_to_blockedN15benchmark_utils11custom_typeIffEELj256ELj4ELj100EEvPKT0_PKjPS4_: ; @_Z6kernelI18scatter_to_blockedN15benchmark_utils11custom_typeIffEELj256ELj4ELj100EEvPKT0_PKjPS4_
; %bb.0:
	s_load_b128 s[4:7], s[0:1], 0x0
	s_mov_b32 s9, 0
	s_lshl_b32 s8, s15, 10
	v_lshlrev_b32_e32 v9, 2, v0
	s_lshl_b64 s[2:3], s[8:9], 3
	v_lshlrev_b32_e32 v1, 3, v0
	s_load_b64 s[0:1], s[0:1], 0x10
	v_lshrrev_b32_e32 v18, 3, v0
	s_waitcnt lgkmcnt(0)
	s_add_u32 s4, s4, s2
	s_addc_u32 s5, s5, s3
	s_lshl_b64 s[8:9], s[8:9], 2
	s_delay_alu instid0(SALU_CYCLE_1)
	s_add_u32 s6, s6, s8
	s_addc_u32 s7, s7, s9
	s_clause 0x3
	global_load_b32 v10, v9, s[6:7]
	global_load_b32 v11, v9, s[6:7] offset:1024
	global_load_b32 v12, v9, s[6:7] offset:2048
	;; [unrolled: 1-line block ×3, first 2 shown]
	v_add_co_u32 v2, s6, s4, v1
	s_delay_alu instid0(VALU_DEP_1) | instskip(NEXT) | instid1(VALU_DEP_2)
	v_add_co_ci_u32_e64 v4, null, s5, 0, s6
	v_add_co_u32 v3, vcc_lo, 0x1000, v2
	s_delay_alu instid0(VALU_DEP_2)
	v_add_co_ci_u32_e32 v4, vcc_lo, 0, v4, vcc_lo
	s_clause 0x3
	global_load_b64 v[5:6], v1, s[4:5]
	global_load_b64 v[7:8], v1, s[4:5] offset:2048
	global_load_b64 v[1:2], v[3:4], off
	global_load_b64 v[3:4], v[3:4], off offset:2048
	s_movk_i32 s4, 0x64
	s_waitcnt vmcnt(7)
	v_lshrrev_b32_e32 v14, 2, v10
	s_waitcnt vmcnt(6)
	v_lshrrev_b32_e32 v15, 2, v11
	;; [unrolled: 2-line block ×4, first 2 shown]
	v_and_b32_e32 v14, 0x3ffffff8, v14
	v_and_b32_e32 v15, 0x3ffffff8, v15
	;; [unrolled: 1-line block ×3, first 2 shown]
	s_delay_alu instid0(VALU_DEP_4) | instskip(NEXT) | instid1(VALU_DEP_4)
	v_and_b32_e32 v17, 0x3ffffff8, v17
	v_lshl_add_u32 v0, v10, 3, v14
	s_delay_alu instid0(VALU_DEP_4) | instskip(NEXT) | instid1(VALU_DEP_4)
	v_lshl_add_u32 v10, v11, 3, v15
	v_lshl_add_u32 v11, v12, 3, v16
	s_delay_alu instid0(VALU_DEP_4)
	v_lshl_add_u32 v12, v13, 3, v17
	v_add_lshl_u32 v13, v18, v9, 3
	.p2align	6
.LBB141_1:                              ; =>This Inner Loop Header: Depth=1
	s_waitcnt vmcnt(3)
	ds_store_b64 v0, v[5:6]
	s_waitcnt vmcnt(2)
	ds_store_b64 v10, v[7:8]
	;; [unrolled: 2-line block ×4, first 2 shown]
	s_waitcnt lgkmcnt(0)
	s_barrier
	buffer_gl0_inv
	ds_load_2addr_b64 v[5:8], v13 offset1:1
	ds_load_2addr_b64 v[1:4], v13 offset0:2 offset1:3
	s_add_i32 s4, s4, -1
	s_waitcnt lgkmcnt(0)
	s_cmp_lg_u32 s4, 0
	s_barrier
	buffer_gl0_inv
	s_cbranch_scc1 .LBB141_1
; %bb.2:
	v_lshlrev_b32_e32 v0, 3, v9
	s_add_u32 s0, s0, s2
	s_addc_u32 s1, s1, s3
	s_clause 0x1
	global_store_b128 v0, v[5:8], s[0:1]
	global_store_b128 v0, v[1:4], s[0:1] offset:16
	s_nop 0
	s_sendmsg sendmsg(MSG_DEALLOC_VGPRS)
	s_endpgm
	.section	.rodata,"a",@progbits
	.p2align	6, 0x0
	.amdhsa_kernel _Z6kernelI18scatter_to_blockedN15benchmark_utils11custom_typeIffEELj256ELj4ELj100EEvPKT0_PKjPS4_
		.amdhsa_group_segment_fixed_size 8448
		.amdhsa_private_segment_fixed_size 0
		.amdhsa_kernarg_size 24
		.amdhsa_user_sgpr_count 15
		.amdhsa_user_sgpr_dispatch_ptr 0
		.amdhsa_user_sgpr_queue_ptr 0
		.amdhsa_user_sgpr_kernarg_segment_ptr 1
		.amdhsa_user_sgpr_dispatch_id 0
		.amdhsa_user_sgpr_private_segment_size 0
		.amdhsa_wavefront_size32 1
		.amdhsa_uses_dynamic_stack 0
		.amdhsa_enable_private_segment 0
		.amdhsa_system_sgpr_workgroup_id_x 1
		.amdhsa_system_sgpr_workgroup_id_y 0
		.amdhsa_system_sgpr_workgroup_id_z 0
		.amdhsa_system_sgpr_workgroup_info 0
		.amdhsa_system_vgpr_workitem_id 0
		.amdhsa_next_free_vgpr 19
		.amdhsa_next_free_sgpr 16
		.amdhsa_reserve_vcc 1
		.amdhsa_float_round_mode_32 0
		.amdhsa_float_round_mode_16_64 0
		.amdhsa_float_denorm_mode_32 3
		.amdhsa_float_denorm_mode_16_64 3
		.amdhsa_dx10_clamp 1
		.amdhsa_ieee_mode 1
		.amdhsa_fp16_overflow 0
		.amdhsa_workgroup_processor_mode 1
		.amdhsa_memory_ordered 1
		.amdhsa_forward_progress 0
		.amdhsa_shared_vgpr_count 0
		.amdhsa_exception_fp_ieee_invalid_op 0
		.amdhsa_exception_fp_denorm_src 0
		.amdhsa_exception_fp_ieee_div_zero 0
		.amdhsa_exception_fp_ieee_overflow 0
		.amdhsa_exception_fp_ieee_underflow 0
		.amdhsa_exception_fp_ieee_inexact 0
		.amdhsa_exception_int_div_zero 0
	.end_amdhsa_kernel
	.section	.text._Z6kernelI18scatter_to_blockedN15benchmark_utils11custom_typeIffEELj256ELj4ELj100EEvPKT0_PKjPS4_,"axG",@progbits,_Z6kernelI18scatter_to_blockedN15benchmark_utils11custom_typeIffEELj256ELj4ELj100EEvPKT0_PKjPS4_,comdat
.Lfunc_end141:
	.size	_Z6kernelI18scatter_to_blockedN15benchmark_utils11custom_typeIffEELj256ELj4ELj100EEvPKT0_PKjPS4_, .Lfunc_end141-_Z6kernelI18scatter_to_blockedN15benchmark_utils11custom_typeIffEELj256ELj4ELj100EEvPKT0_PKjPS4_
                                        ; -- End function
	.section	.AMDGPU.csdata,"",@progbits
; Kernel info:
; codeLenInByte = 452
; NumSgprs: 18
; NumVgprs: 19
; ScratchSize: 0
; MemoryBound: 0
; FloatMode: 240
; IeeeMode: 1
; LDSByteSize: 8448 bytes/workgroup (compile time only)
; SGPRBlocks: 2
; VGPRBlocks: 2
; NumSGPRsForWavesPerEU: 18
; NumVGPRsForWavesPerEU: 19
; Occupancy: 16
; WaveLimiterHint : 1
; COMPUTE_PGM_RSRC2:SCRATCH_EN: 0
; COMPUTE_PGM_RSRC2:USER_SGPR: 15
; COMPUTE_PGM_RSRC2:TRAP_HANDLER: 0
; COMPUTE_PGM_RSRC2:TGID_X_EN: 1
; COMPUTE_PGM_RSRC2:TGID_Y_EN: 0
; COMPUTE_PGM_RSRC2:TGID_Z_EN: 0
; COMPUTE_PGM_RSRC2:TIDIG_COMP_CNT: 0
	.section	.text._Z6kernelI18scatter_to_blockedN15benchmark_utils11custom_typeIffEELj256ELj7ELj100EEvPKT0_PKjPS4_,"axG",@progbits,_Z6kernelI18scatter_to_blockedN15benchmark_utils11custom_typeIffEELj256ELj7ELj100EEvPKT0_PKjPS4_,comdat
	.protected	_Z6kernelI18scatter_to_blockedN15benchmark_utils11custom_typeIffEELj256ELj7ELj100EEvPKT0_PKjPS4_ ; -- Begin function _Z6kernelI18scatter_to_blockedN15benchmark_utils11custom_typeIffEELj256ELj7ELj100EEvPKT0_PKjPS4_
	.globl	_Z6kernelI18scatter_to_blockedN15benchmark_utils11custom_typeIffEELj256ELj7ELj100EEvPKT0_PKjPS4_
	.p2align	8
	.type	_Z6kernelI18scatter_to_blockedN15benchmark_utils11custom_typeIffEELj256ELj7ELj100EEvPKT0_PKjPS4_,@function
_Z6kernelI18scatter_to_blockedN15benchmark_utils11custom_typeIffEELj256ELj7ELj100EEvPKT0_PKjPS4_: ; @_Z6kernelI18scatter_to_blockedN15benchmark_utils11custom_typeIffEELj256ELj7ELj100EEvPKT0_PKjPS4_
; %bb.0:
	s_load_b128 s[4:7], s[0:1], 0x0
	s_mov_b32 s9, 0
	s_mul_i32 s8, s15, 0x700
	v_lshlrev_b32_e32 v11, 3, v0
	s_lshl_b64 s[2:3], s[8:9], 3
	v_lshlrev_b32_e32 v9, 2, v0
	s_load_b64 s[0:1], s[0:1], 0x10
	v_mul_u32_u24_e32 v0, 7, v0
	s_delay_alu instid0(VALU_DEP_1) | instskip(SKIP_4) | instid1(VALU_DEP_1)
	v_lshlrev_b32_e32 v0, 3, v0
	s_waitcnt lgkmcnt(0)
	s_add_u32 s4, s4, s2
	s_addc_u32 s5, s5, s3
	v_add_co_u32 v10, s10, s4, v11
	v_add_co_ci_u32_e64 v12, null, s5, 0, s10
	s_lshl_b64 s[8:9], s[8:9], 2
	s_delay_alu instid0(VALU_DEP_2) | instskip(SKIP_1) | instid1(VALU_DEP_2)
	v_add_co_u32 v3, vcc_lo, 0x1000, v10
	s_add_u32 s6, s6, s8
	v_add_co_ci_u32_e32 v4, vcc_lo, 0, v12, vcc_lo
	v_add_co_u32 v1, vcc_lo, v10, 0x2000
	s_addc_u32 s7, s7, s9
	v_add_co_u32 v7, s8, s6, v9
	v_add_co_ci_u32_e32 v2, vcc_lo, 0, v12, vcc_lo
	v_add_co_ci_u32_e64 v8, null, s7, 0, s8
	v_add_co_u32 v13, vcc_lo, 0x2000, v10
	v_add_co_ci_u32_e32 v14, vcc_lo, 0, v12, vcc_lo
	v_add_co_u32 v7, vcc_lo, 0x1000, v7
	s_delay_alu instid0(VALU_DEP_4)
	v_add_co_ci_u32_e32 v8, vcc_lo, 0, v8, vcc_lo
	v_add_co_u32 v15, vcc_lo, 0x3000, v10
	s_clause 0x1
	global_load_b64 v[5:6], v[1:2], off offset:-4096
	global_load_b64 v[1:2], v[1:2], off
	s_clause 0x6
	global_load_b32 v17, v9, s[6:7]
	global_load_b32 v18, v9, s[6:7] offset:1024
	global_load_b32 v19, v9, s[6:7] offset:2048
	;; [unrolled: 1-line block ×3, first 2 shown]
	global_load_b32 v21, v[7:8], off
	global_load_b32 v22, v[7:8], off offset:1024
	global_load_b32 v23, v[7:8], off offset:2048
	v_add_co_ci_u32_e32 v16, vcc_lo, 0, v12, vcc_lo
	s_clause 0x4
	global_load_b64 v[9:10], v11, s[4:5]
	global_load_b64 v[11:12], v11, s[4:5] offset:2048
	global_load_b64 v[7:8], v[3:4], off offset:2048
	global_load_b64 v[3:4], v[13:14], off offset:2048
	global_load_b64 v[13:14], v[15:16], off
	s_movk_i32 s4, 0x64
	s_waitcnt vmcnt(11)
	v_lshlrev_b32_e32 v15, 3, v17
	s_waitcnt vmcnt(10)
	v_lshlrev_b32_e32 v16, 3, v18
	;; [unrolled: 2-line block ×7, first 2 shown]
	.p2align	6
.LBB142_1:                              ; =>This Inner Loop Header: Depth=1
	s_waitcnt vmcnt(4)
	ds_store_b64 v15, v[9:10]
	s_waitcnt vmcnt(3)
	ds_store_b64 v16, v[11:12]
	ds_store_b64 v17, v[5:6]
	s_waitcnt vmcnt(2)
	ds_store_b64 v18, v[7:8]
	;; [unrolled: 3-line block ×3, first 2 shown]
	s_waitcnt vmcnt(0)
	ds_store_b64 v21, v[13:14]
	s_waitcnt lgkmcnt(0)
	s_barrier
	buffer_gl0_inv
	ds_load_2addr_b64 v[9:12], v0 offset1:1
	ds_load_2addr_b64 v[5:8], v0 offset0:2 offset1:3
	ds_load_2addr_b64 v[1:4], v0 offset0:4 offset1:5
	ds_load_b64 v[13:14], v0 offset:48
	s_add_i32 s4, s4, -1
	s_waitcnt lgkmcnt(0)
	s_cmp_lg_u32 s4, 0
	s_barrier
	buffer_gl0_inv
	s_cbranch_scc1 .LBB142_1
; %bb.2:
	s_add_u32 s0, s0, s2
	s_addc_u32 s1, s1, s3
	s_clause 0x3
	global_store_b128 v0, v[9:12], s[0:1]
	global_store_b128 v0, v[5:8], s[0:1] offset:16
	global_store_b128 v0, v[1:4], s[0:1] offset:32
	global_store_b64 v0, v[13:14], s[0:1] offset:48
	s_nop 0
	s_sendmsg sendmsg(MSG_DEALLOC_VGPRS)
	s_endpgm
	.section	.rodata,"a",@progbits
	.p2align	6, 0x0
	.amdhsa_kernel _Z6kernelI18scatter_to_blockedN15benchmark_utils11custom_typeIffEELj256ELj7ELj100EEvPKT0_PKjPS4_
		.amdhsa_group_segment_fixed_size 14336
		.amdhsa_private_segment_fixed_size 0
		.amdhsa_kernarg_size 24
		.amdhsa_user_sgpr_count 15
		.amdhsa_user_sgpr_dispatch_ptr 0
		.amdhsa_user_sgpr_queue_ptr 0
		.amdhsa_user_sgpr_kernarg_segment_ptr 1
		.amdhsa_user_sgpr_dispatch_id 0
		.amdhsa_user_sgpr_private_segment_size 0
		.amdhsa_wavefront_size32 1
		.amdhsa_uses_dynamic_stack 0
		.amdhsa_enable_private_segment 0
		.amdhsa_system_sgpr_workgroup_id_x 1
		.amdhsa_system_sgpr_workgroup_id_y 0
		.amdhsa_system_sgpr_workgroup_id_z 0
		.amdhsa_system_sgpr_workgroup_info 0
		.amdhsa_system_vgpr_workitem_id 0
		.amdhsa_next_free_vgpr 24
		.amdhsa_next_free_sgpr 16
		.amdhsa_reserve_vcc 1
		.amdhsa_float_round_mode_32 0
		.amdhsa_float_round_mode_16_64 0
		.amdhsa_float_denorm_mode_32 3
		.amdhsa_float_denorm_mode_16_64 3
		.amdhsa_dx10_clamp 1
		.amdhsa_ieee_mode 1
		.amdhsa_fp16_overflow 0
		.amdhsa_workgroup_processor_mode 1
		.amdhsa_memory_ordered 1
		.amdhsa_forward_progress 0
		.amdhsa_shared_vgpr_count 0
		.amdhsa_exception_fp_ieee_invalid_op 0
		.amdhsa_exception_fp_denorm_src 0
		.amdhsa_exception_fp_ieee_div_zero 0
		.amdhsa_exception_fp_ieee_overflow 0
		.amdhsa_exception_fp_ieee_underflow 0
		.amdhsa_exception_fp_ieee_inexact 0
		.amdhsa_exception_int_div_zero 0
	.end_amdhsa_kernel
	.section	.text._Z6kernelI18scatter_to_blockedN15benchmark_utils11custom_typeIffEELj256ELj7ELj100EEvPKT0_PKjPS4_,"axG",@progbits,_Z6kernelI18scatter_to_blockedN15benchmark_utils11custom_typeIffEELj256ELj7ELj100EEvPKT0_PKjPS4_,comdat
.Lfunc_end142:
	.size	_Z6kernelI18scatter_to_blockedN15benchmark_utils11custom_typeIffEELj256ELj7ELj100EEvPKT0_PKjPS4_, .Lfunc_end142-_Z6kernelI18scatter_to_blockedN15benchmark_utils11custom_typeIffEELj256ELj7ELj100EEvPKT0_PKjPS4_
                                        ; -- End function
	.section	.AMDGPU.csdata,"",@progbits
; Kernel info:
; codeLenInByte = 588
; NumSgprs: 18
; NumVgprs: 24
; ScratchSize: 0
; MemoryBound: 0
; FloatMode: 240
; IeeeMode: 1
; LDSByteSize: 14336 bytes/workgroup (compile time only)
; SGPRBlocks: 2
; VGPRBlocks: 2
; NumSGPRsForWavesPerEU: 18
; NumVGPRsForWavesPerEU: 24
; Occupancy: 16
; WaveLimiterHint : 1
; COMPUTE_PGM_RSRC2:SCRATCH_EN: 0
; COMPUTE_PGM_RSRC2:USER_SGPR: 15
; COMPUTE_PGM_RSRC2:TRAP_HANDLER: 0
; COMPUTE_PGM_RSRC2:TGID_X_EN: 1
; COMPUTE_PGM_RSRC2:TGID_Y_EN: 0
; COMPUTE_PGM_RSRC2:TGID_Z_EN: 0
; COMPUTE_PGM_RSRC2:TIDIG_COMP_CNT: 0
	.section	.text._Z6kernelI18scatter_to_blockedN15benchmark_utils11custom_typeIffEELj256ELj8ELj100EEvPKT0_PKjPS4_,"axG",@progbits,_Z6kernelI18scatter_to_blockedN15benchmark_utils11custom_typeIffEELj256ELj8ELj100EEvPKT0_PKjPS4_,comdat
	.protected	_Z6kernelI18scatter_to_blockedN15benchmark_utils11custom_typeIffEELj256ELj8ELj100EEvPKT0_PKjPS4_ ; -- Begin function _Z6kernelI18scatter_to_blockedN15benchmark_utils11custom_typeIffEELj256ELj8ELj100EEvPKT0_PKjPS4_
	.globl	_Z6kernelI18scatter_to_blockedN15benchmark_utils11custom_typeIffEELj256ELj8ELj100EEvPKT0_PKjPS4_
	.p2align	8
	.type	_Z6kernelI18scatter_to_blockedN15benchmark_utils11custom_typeIffEELj256ELj8ELj100EEvPKT0_PKjPS4_,@function
_Z6kernelI18scatter_to_blockedN15benchmark_utils11custom_typeIffEELj256ELj8ELj100EEvPKT0_PKjPS4_: ; @_Z6kernelI18scatter_to_blockedN15benchmark_utils11custom_typeIffEELj256ELj8ELj100EEvPKT0_PKjPS4_
; %bb.0:
	s_load_b128 s[4:7], s[0:1], 0x0
	s_mov_b32 s9, 0
	s_lshl_b32 s8, s15, 11
	v_lshlrev_b32_e32 v17, 3, v0
	s_lshl_b64 s[2:3], s[8:9], 3
	v_lshlrev_b32_e32 v5, 2, v0
	s_load_b64 s[0:1], s[0:1], 0x10
	v_lshrrev_b32_e32 v30, 2, v0
	s_waitcnt lgkmcnt(0)
	s_add_u32 s4, s4, s2
	s_addc_u32 s5, s5, s3
	s_lshl_b64 s[8:9], s[8:9], 2
	v_add_co_u32 v9, s10, s4, v17
	s_clause 0x1
	global_load_b64 v[1:2], v17, s[4:5]
	global_load_b64 v[3:4], v17, s[4:5] offset:2048
	s_add_u32 s4, s6, s8
	v_add_co_ci_u32_e64 v10, null, s5, 0, s10
	s_addc_u32 s5, s7, s9
	v_add_co_u32 v6, s6, s4, v5
	s_delay_alu instid0(VALU_DEP_1)
	v_add_co_ci_u32_e64 v7, null, s5, 0, s6
	s_clause 0x3
	global_load_b32 v20, v5, s[4:5]
	global_load_b32 v21, v5, s[4:5] offset:1024
	global_load_b32 v22, v5, s[4:5] offset:2048
	;; [unrolled: 1-line block ×3, first 2 shown]
	v_add_co_u32 v5, vcc_lo, 0x1000, v6
	v_add_co_ci_u32_e32 v6, vcc_lo, 0, v7, vcc_lo
	v_add_co_u32 v7, vcc_lo, 0x1000, v9
	s_clause 0x3
	global_load_b32 v24, v[5:6], off
	global_load_b32 v25, v[5:6], off offset:1024
	global_load_b32 v26, v[5:6], off offset:2048
	;; [unrolled: 1-line block ×3, first 2 shown]
	v_add_co_ci_u32_e32 v8, vcc_lo, 0, v10, vcc_lo
	v_add_co_u32 v5, vcc_lo, v9, 0x2000
	v_add_co_ci_u32_e32 v6, vcc_lo, 0, v10, vcc_lo
	v_add_co_u32 v11, vcc_lo, 0x2000, v9
	;; [unrolled: 2-line block ×3, first 2 shown]
	v_add_co_ci_u32_e32 v19, vcc_lo, 0, v10, vcc_lo
	s_clause 0x5
	global_load_b64 v[13:14], v[5:6], off offset:-4096
	global_load_b64 v[9:10], v[5:6], off
	global_load_b64 v[15:16], v[7:8], off offset:2048
	global_load_b64 v[11:12], v[11:12], off offset:2048
	global_load_b64 v[5:6], v[18:19], off
	global_load_b64 v[7:8], v[18:19], off offset:2048
	s_movk_i32 s4, 0x64
	s_waitcnt vmcnt(13)
	v_lshrrev_b32_e32 v18, 2, v20
	s_waitcnt vmcnt(12)
	v_lshrrev_b32_e32 v19, 2, v21
	;; [unrolled: 2-line block ×4, first 2 shown]
	v_and_b32_e32 v18, 0x3ffffff8, v18
	v_and_b32_e32 v19, 0x3ffffff8, v19
	;; [unrolled: 1-line block ×3, first 2 shown]
	s_delay_alu instid0(VALU_DEP_4) | instskip(NEXT) | instid1(VALU_DEP_4)
	v_and_b32_e32 v29, 0x3ffffff8, v29
	v_lshl_add_u32 v0, v20, 3, v18
	s_delay_alu instid0(VALU_DEP_4)
	v_lshl_add_u32 v18, v21, 3, v19
	s_waitcnt vmcnt(9)
	v_lshrrev_b32_e32 v20, 2, v24
	s_waitcnt vmcnt(8)
	v_lshrrev_b32_e32 v21, 2, v25
	;; [unrolled: 2-line block ×4, first 2 shown]
	v_lshl_add_u32 v19, v22, 3, v28
	v_and_b32_e32 v22, 0x3ffffff8, v20
	v_and_b32_e32 v28, 0x3ffffff8, v21
	;; [unrolled: 1-line block ×4, first 2 shown]
	v_lshl_add_u32 v20, v23, 3, v29
	v_lshl_add_u32 v21, v24, 3, v22
	;; [unrolled: 1-line block ×5, first 2 shown]
	v_add_lshl_u32 v25, v30, v17, 3
	.p2align	6
.LBB143_1:                              ; =>This Inner Loop Header: Depth=1
	ds_store_b64 v0, v[1:2]
	ds_store_b64 v18, v[3:4]
	s_waitcnt vmcnt(5)
	ds_store_b64 v19, v[13:14]
	s_waitcnt vmcnt(3)
	ds_store_b64 v20, v[15:16]
	ds_store_b64 v21, v[9:10]
	s_waitcnt vmcnt(2)
	ds_store_b64 v22, v[11:12]
	s_waitcnt vmcnt(1)
	;; [unrolled: 2-line block ×3, first 2 shown]
	ds_store_b64 v24, v[7:8]
	s_waitcnt lgkmcnt(0)
	s_barrier
	buffer_gl0_inv
	ds_load_2addr_b64 v[1:4], v25 offset1:1
	ds_load_2addr_b64 v[13:16], v25 offset0:2 offset1:3
	ds_load_2addr_b64 v[9:12], v25 offset0:4 offset1:5
	;; [unrolled: 1-line block ×3, first 2 shown]
	s_add_i32 s4, s4, -1
	s_waitcnt lgkmcnt(0)
	s_cmp_lg_u32 s4, 0
	s_barrier
	buffer_gl0_inv
	s_cbranch_scc1 .LBB143_1
; %bb.2:
	v_lshlrev_b32_e32 v0, 3, v17
	s_add_u32 s0, s0, s2
	s_addc_u32 s1, s1, s3
	s_clause 0x3
	global_store_b128 v0, v[1:4], s[0:1]
	global_store_b128 v0, v[13:16], s[0:1] offset:16
	global_store_b128 v0, v[9:12], s[0:1] offset:32
	;; [unrolled: 1-line block ×3, first 2 shown]
	s_nop 0
	s_sendmsg sendmsg(MSG_DEALLOC_VGPRS)
	s_endpgm
	.section	.rodata,"a",@progbits
	.p2align	6, 0x0
	.amdhsa_kernel _Z6kernelI18scatter_to_blockedN15benchmark_utils11custom_typeIffEELj256ELj8ELj100EEvPKT0_PKjPS4_
		.amdhsa_group_segment_fixed_size 16896
		.amdhsa_private_segment_fixed_size 0
		.amdhsa_kernarg_size 24
		.amdhsa_user_sgpr_count 15
		.amdhsa_user_sgpr_dispatch_ptr 0
		.amdhsa_user_sgpr_queue_ptr 0
		.amdhsa_user_sgpr_kernarg_segment_ptr 1
		.amdhsa_user_sgpr_dispatch_id 0
		.amdhsa_user_sgpr_private_segment_size 0
		.amdhsa_wavefront_size32 1
		.amdhsa_uses_dynamic_stack 0
		.amdhsa_enable_private_segment 0
		.amdhsa_system_sgpr_workgroup_id_x 1
		.amdhsa_system_sgpr_workgroup_id_y 0
		.amdhsa_system_sgpr_workgroup_id_z 0
		.amdhsa_system_sgpr_workgroup_info 0
		.amdhsa_system_vgpr_workitem_id 0
		.amdhsa_next_free_vgpr 33
		.amdhsa_next_free_sgpr 16
		.amdhsa_reserve_vcc 1
		.amdhsa_float_round_mode_32 0
		.amdhsa_float_round_mode_16_64 0
		.amdhsa_float_denorm_mode_32 3
		.amdhsa_float_denorm_mode_16_64 3
		.amdhsa_dx10_clamp 1
		.amdhsa_ieee_mode 1
		.amdhsa_fp16_overflow 0
		.amdhsa_workgroup_processor_mode 1
		.amdhsa_memory_ordered 1
		.amdhsa_forward_progress 0
		.amdhsa_shared_vgpr_count 0
		.amdhsa_exception_fp_ieee_invalid_op 0
		.amdhsa_exception_fp_denorm_src 0
		.amdhsa_exception_fp_ieee_div_zero 0
		.amdhsa_exception_fp_ieee_overflow 0
		.amdhsa_exception_fp_ieee_underflow 0
		.amdhsa_exception_fp_ieee_inexact 0
		.amdhsa_exception_int_div_zero 0
	.end_amdhsa_kernel
	.section	.text._Z6kernelI18scatter_to_blockedN15benchmark_utils11custom_typeIffEELj256ELj8ELj100EEvPKT0_PKjPS4_,"axG",@progbits,_Z6kernelI18scatter_to_blockedN15benchmark_utils11custom_typeIffEELj256ELj8ELj100EEvPKT0_PKjPS4_,comdat
.Lfunc_end143:
	.size	_Z6kernelI18scatter_to_blockedN15benchmark_utils11custom_typeIffEELj256ELj8ELj100EEvPKT0_PKjPS4_, .Lfunc_end143-_Z6kernelI18scatter_to_blockedN15benchmark_utils11custom_typeIffEELj256ELj8ELj100EEvPKT0_PKjPS4_
                                        ; -- End function
	.section	.AMDGPU.csdata,"",@progbits
; Kernel info:
; codeLenInByte = 756
; NumSgprs: 18
; NumVgprs: 33
; ScratchSize: 0
; MemoryBound: 0
; FloatMode: 240
; IeeeMode: 1
; LDSByteSize: 16896 bytes/workgroup (compile time only)
; SGPRBlocks: 2
; VGPRBlocks: 4
; NumSGPRsForWavesPerEU: 18
; NumVGPRsForWavesPerEU: 33
; Occupancy: 14
; WaveLimiterHint : 1
; COMPUTE_PGM_RSRC2:SCRATCH_EN: 0
; COMPUTE_PGM_RSRC2:USER_SGPR: 15
; COMPUTE_PGM_RSRC2:TRAP_HANDLER: 0
; COMPUTE_PGM_RSRC2:TGID_X_EN: 1
; COMPUTE_PGM_RSRC2:TGID_Y_EN: 0
; COMPUTE_PGM_RSRC2:TGID_Z_EN: 0
; COMPUTE_PGM_RSRC2:TIDIG_COMP_CNT: 0
	.section	.text._Z6kernelI18scatter_to_blockedN15benchmark_utils11custom_typeIddEELj256ELj1ELj100EEvPKT0_PKjPS4_,"axG",@progbits,_Z6kernelI18scatter_to_blockedN15benchmark_utils11custom_typeIddEELj256ELj1ELj100EEvPKT0_PKjPS4_,comdat
	.protected	_Z6kernelI18scatter_to_blockedN15benchmark_utils11custom_typeIddEELj256ELj1ELj100EEvPKT0_PKjPS4_ ; -- Begin function _Z6kernelI18scatter_to_blockedN15benchmark_utils11custom_typeIddEELj256ELj1ELj100EEvPKT0_PKjPS4_
	.globl	_Z6kernelI18scatter_to_blockedN15benchmark_utils11custom_typeIddEELj256ELj1ELj100EEvPKT0_PKjPS4_
	.p2align	8
	.type	_Z6kernelI18scatter_to_blockedN15benchmark_utils11custom_typeIddEELj256ELj1ELj100EEvPKT0_PKjPS4_,@function
_Z6kernelI18scatter_to_blockedN15benchmark_utils11custom_typeIddEELj256ELj1ELj100EEvPKT0_PKjPS4_: ; @_Z6kernelI18scatter_to_blockedN15benchmark_utils11custom_typeIddEELj256ELj1ELj100EEvPKT0_PKjPS4_
; %bb.0:
	s_load_b128 s[4:7], s[0:1], 0x0
	s_mov_b32 s9, 0
	s_lshl_b32 s8, s15, 8
	v_lshlrev_b32_e32 v1, 2, v0
	s_lshl_b64 s[2:3], s[8:9], 4
	v_lshlrev_b32_e32 v5, 4, v0
	s_load_b64 s[0:1], s[0:1], 0x10
	s_waitcnt lgkmcnt(0)
	s_add_u32 s4, s4, s2
	s_addc_u32 s5, s5, s3
	s_lshl_b64 s[8:9], s[8:9], 2
	s_delay_alu instid0(SALU_CYCLE_1)
	s_add_u32 s6, s6, s8
	s_addc_u32 s7, s7, s9
	global_load_b32 v6, v1, s[6:7]
	global_load_b128 v[1:4], v5, s[4:5]
	s_movk_i32 s4, 0x64
	s_waitcnt vmcnt(1)
	v_lshlrev_b32_e32 v6, 4, v6
.LBB144_1:                              ; =>This Inner Loop Header: Depth=1
	s_waitcnt vmcnt(0)
	ds_store_b128 v6, v[1:4]
	s_waitcnt lgkmcnt(0)
	s_barrier
	buffer_gl0_inv
	ds_load_b128 v[1:4], v5
	s_add_i32 s4, s4, -1
	s_waitcnt lgkmcnt(0)
	s_cmp_lg_u32 s4, 0
	s_barrier
	buffer_gl0_inv
	s_cbranch_scc1 .LBB144_1
; %bb.2:
	v_lshlrev_b32_e32 v0, 4, v0
	s_add_u32 s0, s0, s2
	s_addc_u32 s1, s1, s3
	global_store_b128 v0, v[1:4], s[0:1]
	s_nop 0
	s_sendmsg sendmsg(MSG_DEALLOC_VGPRS)
	s_endpgm
	.section	.rodata,"a",@progbits
	.p2align	6, 0x0
	.amdhsa_kernel _Z6kernelI18scatter_to_blockedN15benchmark_utils11custom_typeIddEELj256ELj1ELj100EEvPKT0_PKjPS4_
		.amdhsa_group_segment_fixed_size 4096
		.amdhsa_private_segment_fixed_size 0
		.amdhsa_kernarg_size 24
		.amdhsa_user_sgpr_count 15
		.amdhsa_user_sgpr_dispatch_ptr 0
		.amdhsa_user_sgpr_queue_ptr 0
		.amdhsa_user_sgpr_kernarg_segment_ptr 1
		.amdhsa_user_sgpr_dispatch_id 0
		.amdhsa_user_sgpr_private_segment_size 0
		.amdhsa_wavefront_size32 1
		.amdhsa_uses_dynamic_stack 0
		.amdhsa_enable_private_segment 0
		.amdhsa_system_sgpr_workgroup_id_x 1
		.amdhsa_system_sgpr_workgroup_id_y 0
		.amdhsa_system_sgpr_workgroup_id_z 0
		.amdhsa_system_sgpr_workgroup_info 0
		.amdhsa_system_vgpr_workitem_id 0
		.amdhsa_next_free_vgpr 7
		.amdhsa_next_free_sgpr 16
		.amdhsa_reserve_vcc 0
		.amdhsa_float_round_mode_32 0
		.amdhsa_float_round_mode_16_64 0
		.amdhsa_float_denorm_mode_32 3
		.amdhsa_float_denorm_mode_16_64 3
		.amdhsa_dx10_clamp 1
		.amdhsa_ieee_mode 1
		.amdhsa_fp16_overflow 0
		.amdhsa_workgroup_processor_mode 1
		.amdhsa_memory_ordered 1
		.amdhsa_forward_progress 0
		.amdhsa_shared_vgpr_count 0
		.amdhsa_exception_fp_ieee_invalid_op 0
		.amdhsa_exception_fp_denorm_src 0
		.amdhsa_exception_fp_ieee_div_zero 0
		.amdhsa_exception_fp_ieee_overflow 0
		.amdhsa_exception_fp_ieee_underflow 0
		.amdhsa_exception_fp_ieee_inexact 0
		.amdhsa_exception_int_div_zero 0
	.end_amdhsa_kernel
	.section	.text._Z6kernelI18scatter_to_blockedN15benchmark_utils11custom_typeIddEELj256ELj1ELj100EEvPKT0_PKjPS4_,"axG",@progbits,_Z6kernelI18scatter_to_blockedN15benchmark_utils11custom_typeIddEELj256ELj1ELj100EEvPKT0_PKjPS4_,comdat
.Lfunc_end144:
	.size	_Z6kernelI18scatter_to_blockedN15benchmark_utils11custom_typeIddEELj256ELj1ELj100EEvPKT0_PKjPS4_, .Lfunc_end144-_Z6kernelI18scatter_to_blockedN15benchmark_utils11custom_typeIddEELj256ELj1ELj100EEvPKT0_PKjPS4_
                                        ; -- End function
	.section	.AMDGPU.csdata,"",@progbits
; Kernel info:
; codeLenInByte = 188
; NumSgprs: 16
; NumVgprs: 7
; ScratchSize: 0
; MemoryBound: 0
; FloatMode: 240
; IeeeMode: 1
; LDSByteSize: 4096 bytes/workgroup (compile time only)
; SGPRBlocks: 1
; VGPRBlocks: 0
; NumSGPRsForWavesPerEU: 16
; NumVGPRsForWavesPerEU: 7
; Occupancy: 16
; WaveLimiterHint : 0
; COMPUTE_PGM_RSRC2:SCRATCH_EN: 0
; COMPUTE_PGM_RSRC2:USER_SGPR: 15
; COMPUTE_PGM_RSRC2:TRAP_HANDLER: 0
; COMPUTE_PGM_RSRC2:TGID_X_EN: 1
; COMPUTE_PGM_RSRC2:TGID_Y_EN: 0
; COMPUTE_PGM_RSRC2:TGID_Z_EN: 0
; COMPUTE_PGM_RSRC2:TIDIG_COMP_CNT: 0
	.section	.text._Z6kernelI18scatter_to_blockedN15benchmark_utils11custom_typeIddEELj256ELj2ELj100EEvPKT0_PKjPS4_,"axG",@progbits,_Z6kernelI18scatter_to_blockedN15benchmark_utils11custom_typeIddEELj256ELj2ELj100EEvPKT0_PKjPS4_,comdat
	.protected	_Z6kernelI18scatter_to_blockedN15benchmark_utils11custom_typeIddEELj256ELj2ELj100EEvPKT0_PKjPS4_ ; -- Begin function _Z6kernelI18scatter_to_blockedN15benchmark_utils11custom_typeIddEELj256ELj2ELj100EEvPKT0_PKjPS4_
	.globl	_Z6kernelI18scatter_to_blockedN15benchmark_utils11custom_typeIddEELj256ELj2ELj100EEvPKT0_PKjPS4_
	.p2align	8
	.type	_Z6kernelI18scatter_to_blockedN15benchmark_utils11custom_typeIddEELj256ELj2ELj100EEvPKT0_PKjPS4_,@function
_Z6kernelI18scatter_to_blockedN15benchmark_utils11custom_typeIddEELj256ELj2ELj100EEvPKT0_PKjPS4_: ; @_Z6kernelI18scatter_to_blockedN15benchmark_utils11custom_typeIddEELj256ELj2ELj100EEvPKT0_PKjPS4_
; %bb.0:
	s_load_b128 s[4:7], s[0:1], 0x0
	s_mov_b32 s9, 0
	s_lshl_b32 s8, s15, 9
	v_lshlrev_b32_e32 v1, 2, v0
	s_lshl_b64 s[2:3], s[8:9], 4
	v_lshlrev_b32_e32 v3, 4, v0
	s_load_b64 s[0:1], s[0:1], 0x10
	v_lshlrev_b32_e32 v9, 1, v0
	v_lshrrev_b32_e32 v14, 4, v0
	s_waitcnt lgkmcnt(0)
	s_add_u32 s4, s4, s2
	s_addc_u32 s5, s5, s3
	s_lshl_b64 s[8:9], s[8:9], 2
	s_delay_alu instid0(SALU_CYCLE_1)
	s_add_u32 s6, s6, s8
	s_addc_u32 s7, s7, s9
	s_clause 0x1
	global_load_b32 v10, v1, s[6:7]
	global_load_b32 v11, v1, s[6:7] offset:1024
	v_add_co_u32 v1, s6, s4, v3
	s_delay_alu instid0(VALU_DEP_1) | instskip(NEXT) | instid1(VALU_DEP_2)
	v_add_co_ci_u32_e64 v2, null, s5, 0, s6
	v_add_co_u32 v1, vcc_lo, 0x1000, v1
	s_delay_alu instid0(VALU_DEP_2)
	v_add_co_ci_u32_e32 v2, vcc_lo, 0, v2, vcc_lo
	s_clause 0x1
	global_load_b128 v[5:8], v3, s[4:5]
	global_load_b128 v[1:4], v[1:2], off
	s_movk_i32 s4, 0x64
	s_waitcnt vmcnt(3)
	v_lshrrev_b32_e32 v12, 1, v10
	s_waitcnt vmcnt(2)
	v_lshrrev_b32_e32 v13, 1, v11
	s_delay_alu instid0(VALU_DEP_2) | instskip(NEXT) | instid1(VALU_DEP_2)
	v_and_b32_e32 v12, 0x7ffffff0, v12
	v_and_b32_e32 v13, 0x7ffffff0, v13
	s_delay_alu instid0(VALU_DEP_2) | instskip(NEXT) | instid1(VALU_DEP_2)
	v_lshl_add_u32 v0, v10, 4, v12
	v_lshl_add_u32 v10, v11, 4, v13
	v_add_lshl_u32 v11, v14, v9, 4
.LBB145_1:                              ; =>This Inner Loop Header: Depth=1
	s_waitcnt vmcnt(1)
	ds_store_b128 v0, v[5:8]
	s_waitcnt vmcnt(0)
	ds_store_b128 v10, v[1:4]
	s_waitcnt lgkmcnt(0)
	s_barrier
	buffer_gl0_inv
	ds_load_b128 v[5:8], v11
	ds_load_b128 v[1:4], v11 offset:16
	s_add_i32 s4, s4, -1
	s_waitcnt lgkmcnt(0)
	s_cmp_lg_u32 s4, 0
	s_barrier
	buffer_gl0_inv
	s_cbranch_scc1 .LBB145_1
; %bb.2:
	v_lshlrev_b32_e32 v0, 4, v9
	s_add_u32 s0, s0, s2
	s_addc_u32 s1, s1, s3
	s_clause 0x1
	global_store_b128 v0, v[5:8], s[0:1]
	global_store_b128 v0, v[1:4], s[0:1] offset:16
	s_nop 0
	s_sendmsg sendmsg(MSG_DEALLOC_VGPRS)
	s_endpgm
	.section	.rodata,"a",@progbits
	.p2align	6, 0x0
	.amdhsa_kernel _Z6kernelI18scatter_to_blockedN15benchmark_utils11custom_typeIddEELj256ELj2ELj100EEvPKT0_PKjPS4_
		.amdhsa_group_segment_fixed_size 8448
		.amdhsa_private_segment_fixed_size 0
		.amdhsa_kernarg_size 24
		.amdhsa_user_sgpr_count 15
		.amdhsa_user_sgpr_dispatch_ptr 0
		.amdhsa_user_sgpr_queue_ptr 0
		.amdhsa_user_sgpr_kernarg_segment_ptr 1
		.amdhsa_user_sgpr_dispatch_id 0
		.amdhsa_user_sgpr_private_segment_size 0
		.amdhsa_wavefront_size32 1
		.amdhsa_uses_dynamic_stack 0
		.amdhsa_enable_private_segment 0
		.amdhsa_system_sgpr_workgroup_id_x 1
		.amdhsa_system_sgpr_workgroup_id_y 0
		.amdhsa_system_sgpr_workgroup_id_z 0
		.amdhsa_system_sgpr_workgroup_info 0
		.amdhsa_system_vgpr_workitem_id 0
		.amdhsa_next_free_vgpr 15
		.amdhsa_next_free_sgpr 16
		.amdhsa_reserve_vcc 1
		.amdhsa_float_round_mode_32 0
		.amdhsa_float_round_mode_16_64 0
		.amdhsa_float_denorm_mode_32 3
		.amdhsa_float_denorm_mode_16_64 3
		.amdhsa_dx10_clamp 1
		.amdhsa_ieee_mode 1
		.amdhsa_fp16_overflow 0
		.amdhsa_workgroup_processor_mode 1
		.amdhsa_memory_ordered 1
		.amdhsa_forward_progress 0
		.amdhsa_shared_vgpr_count 0
		.amdhsa_exception_fp_ieee_invalid_op 0
		.amdhsa_exception_fp_denorm_src 0
		.amdhsa_exception_fp_ieee_div_zero 0
		.amdhsa_exception_fp_ieee_overflow 0
		.amdhsa_exception_fp_ieee_underflow 0
		.amdhsa_exception_fp_ieee_inexact 0
		.amdhsa_exception_int_div_zero 0
	.end_amdhsa_kernel
	.section	.text._Z6kernelI18scatter_to_blockedN15benchmark_utils11custom_typeIddEELj256ELj2ELj100EEvPKT0_PKjPS4_,"axG",@progbits,_Z6kernelI18scatter_to_blockedN15benchmark_utils11custom_typeIddEELj256ELj2ELj100EEvPKT0_PKjPS4_,comdat
.Lfunc_end145:
	.size	_Z6kernelI18scatter_to_blockedN15benchmark_utils11custom_typeIddEELj256ELj2ELj100EEvPKT0_PKjPS4_, .Lfunc_end145-_Z6kernelI18scatter_to_blockedN15benchmark_utils11custom_typeIddEELj256ELj2ELj100EEvPKT0_PKjPS4_
                                        ; -- End function
	.section	.AMDGPU.csdata,"",@progbits
; Kernel info:
; codeLenInByte = 348
; NumSgprs: 18
; NumVgprs: 15
; ScratchSize: 0
; MemoryBound: 0
; FloatMode: 240
; IeeeMode: 1
; LDSByteSize: 8448 bytes/workgroup (compile time only)
; SGPRBlocks: 2
; VGPRBlocks: 1
; NumSGPRsForWavesPerEU: 18
; NumVGPRsForWavesPerEU: 15
; Occupancy: 16
; WaveLimiterHint : 1
; COMPUTE_PGM_RSRC2:SCRATCH_EN: 0
; COMPUTE_PGM_RSRC2:USER_SGPR: 15
; COMPUTE_PGM_RSRC2:TRAP_HANDLER: 0
; COMPUTE_PGM_RSRC2:TGID_X_EN: 1
; COMPUTE_PGM_RSRC2:TGID_Y_EN: 0
; COMPUTE_PGM_RSRC2:TGID_Z_EN: 0
; COMPUTE_PGM_RSRC2:TIDIG_COMP_CNT: 0
	.section	.text._Z6kernelI18scatter_to_blockedN15benchmark_utils11custom_typeIddEELj256ELj3ELj100EEvPKT0_PKjPS4_,"axG",@progbits,_Z6kernelI18scatter_to_blockedN15benchmark_utils11custom_typeIddEELj256ELj3ELj100EEvPKT0_PKjPS4_,comdat
	.protected	_Z6kernelI18scatter_to_blockedN15benchmark_utils11custom_typeIddEELj256ELj3ELj100EEvPKT0_PKjPS4_ ; -- Begin function _Z6kernelI18scatter_to_blockedN15benchmark_utils11custom_typeIddEELj256ELj3ELj100EEvPKT0_PKjPS4_
	.globl	_Z6kernelI18scatter_to_blockedN15benchmark_utils11custom_typeIddEELj256ELj3ELj100EEvPKT0_PKjPS4_
	.p2align	8
	.type	_Z6kernelI18scatter_to_blockedN15benchmark_utils11custom_typeIddEELj256ELj3ELj100EEvPKT0_PKjPS4_,@function
_Z6kernelI18scatter_to_blockedN15benchmark_utils11custom_typeIddEELj256ELj3ELj100EEvPKT0_PKjPS4_: ; @_Z6kernelI18scatter_to_blockedN15benchmark_utils11custom_typeIddEELj256ELj3ELj100EEvPKT0_PKjPS4_
; %bb.0:
	s_load_b128 s[4:7], s[0:1], 0x0
	s_mov_b32 s9, 0
	s_mul_i32 s8, s15, 0x300
	v_lshlrev_b32_e32 v3, 4, v0
	s_lshl_b64 s[2:3], s[8:9], 4
	v_lshlrev_b32_e32 v1, 2, v0
	s_load_b64 s[0:1], s[0:1], 0x10
	v_mul_u32_u24_e32 v0, 3, v0
	s_delay_alu instid0(VALU_DEP_1) | instskip(SKIP_4) | instid1(SALU_CYCLE_1)
	v_lshlrev_b32_e32 v0, 4, v0
	s_waitcnt lgkmcnt(0)
	s_add_u32 s4, s4, s2
	s_addc_u32 s5, s5, s3
	s_lshl_b64 s[8:9], s[8:9], 2
	s_add_u32 s6, s6, s8
	v_add_co_u32 v2, s8, s4, v3
	s_delay_alu instid0(VALU_DEP_1)
	v_add_co_ci_u32_e64 v4, null, s5, 0, s8
	s_addc_u32 s7, s7, s9
	s_clause 0x2
	global_load_b32 v13, v1, s[6:7]
	global_load_b32 v14, v1, s[6:7] offset:1024
	global_load_b32 v15, v1, s[6:7] offset:2048
	v_add_co_u32 v1, vcc_lo, v2, 0x2000
	v_add_co_ci_u32_e32 v2, vcc_lo, 0, v4, vcc_lo
	s_clause 0x2
	global_load_b128 v[9:12], v3, s[4:5]
	global_load_b128 v[5:8], v[1:2], off offset:-4096
	global_load_b128 v[1:4], v[1:2], off
	s_movk_i32 s4, 0x64
	s_waitcnt vmcnt(5)
	v_lshlrev_b32_e32 v13, 4, v13
	s_waitcnt vmcnt(4)
	v_lshlrev_b32_e32 v14, 4, v14
	s_waitcnt vmcnt(3)
	v_lshlrev_b32_e32 v15, 4, v15
	.p2align	6
.LBB146_1:                              ; =>This Inner Loop Header: Depth=1
	s_waitcnt vmcnt(2)
	ds_store_b128 v13, v[9:12]
	s_waitcnt vmcnt(1)
	ds_store_b128 v14, v[5:8]
	;; [unrolled: 2-line block ×3, first 2 shown]
	s_waitcnt lgkmcnt(0)
	s_barrier
	buffer_gl0_inv
	ds_load_b128 v[9:12], v0
	ds_load_b128 v[5:8], v0 offset:16
	ds_load_b128 v[1:4], v0 offset:32
	s_add_i32 s4, s4, -1
	s_waitcnt lgkmcnt(0)
	s_cmp_lg_u32 s4, 0
	s_barrier
	buffer_gl0_inv
	s_cbranch_scc1 .LBB146_1
; %bb.2:
	s_add_u32 s0, s0, s2
	s_addc_u32 s1, s1, s3
	s_clause 0x2
	global_store_b128 v0, v[9:12], s[0:1]
	global_store_b128 v0, v[5:8], s[0:1] offset:16
	global_store_b128 v0, v[1:4], s[0:1] offset:32
	s_nop 0
	s_sendmsg sendmsg(MSG_DEALLOC_VGPRS)
	s_endpgm
	.section	.rodata,"a",@progbits
	.p2align	6, 0x0
	.amdhsa_kernel _Z6kernelI18scatter_to_blockedN15benchmark_utils11custom_typeIddEELj256ELj3ELj100EEvPKT0_PKjPS4_
		.amdhsa_group_segment_fixed_size 12288
		.amdhsa_private_segment_fixed_size 0
		.amdhsa_kernarg_size 24
		.amdhsa_user_sgpr_count 15
		.amdhsa_user_sgpr_dispatch_ptr 0
		.amdhsa_user_sgpr_queue_ptr 0
		.amdhsa_user_sgpr_kernarg_segment_ptr 1
		.amdhsa_user_sgpr_dispatch_id 0
		.amdhsa_user_sgpr_private_segment_size 0
		.amdhsa_wavefront_size32 1
		.amdhsa_uses_dynamic_stack 0
		.amdhsa_enable_private_segment 0
		.amdhsa_system_sgpr_workgroup_id_x 1
		.amdhsa_system_sgpr_workgroup_id_y 0
		.amdhsa_system_sgpr_workgroup_id_z 0
		.amdhsa_system_sgpr_workgroup_info 0
		.amdhsa_system_vgpr_workitem_id 0
		.amdhsa_next_free_vgpr 16
		.amdhsa_next_free_sgpr 16
		.amdhsa_reserve_vcc 1
		.amdhsa_float_round_mode_32 0
		.amdhsa_float_round_mode_16_64 0
		.amdhsa_float_denorm_mode_32 3
		.amdhsa_float_denorm_mode_16_64 3
		.amdhsa_dx10_clamp 1
		.amdhsa_ieee_mode 1
		.amdhsa_fp16_overflow 0
		.amdhsa_workgroup_processor_mode 1
		.amdhsa_memory_ordered 1
		.amdhsa_forward_progress 0
		.amdhsa_shared_vgpr_count 0
		.amdhsa_exception_fp_ieee_invalid_op 0
		.amdhsa_exception_fp_denorm_src 0
		.amdhsa_exception_fp_ieee_div_zero 0
		.amdhsa_exception_fp_ieee_overflow 0
		.amdhsa_exception_fp_ieee_underflow 0
		.amdhsa_exception_fp_ieee_inexact 0
		.amdhsa_exception_int_div_zero 0
	.end_amdhsa_kernel
	.section	.text._Z6kernelI18scatter_to_blockedN15benchmark_utils11custom_typeIddEELj256ELj3ELj100EEvPKT0_PKjPS4_,"axG",@progbits,_Z6kernelI18scatter_to_blockedN15benchmark_utils11custom_typeIddEELj256ELj3ELj100EEvPKT0_PKjPS4_,comdat
.Lfunc_end146:
	.size	_Z6kernelI18scatter_to_blockedN15benchmark_utils11custom_typeIddEELj256ELj3ELj100EEvPKT0_PKjPS4_, .Lfunc_end146-_Z6kernelI18scatter_to_blockedN15benchmark_utils11custom_typeIddEELj256ELj3ELj100EEvPKT0_PKjPS4_
                                        ; -- End function
	.section	.AMDGPU.csdata,"",@progbits
; Kernel info:
; codeLenInByte = 348
; NumSgprs: 18
; NumVgprs: 16
; ScratchSize: 0
; MemoryBound: 0
; FloatMode: 240
; IeeeMode: 1
; LDSByteSize: 12288 bytes/workgroup (compile time only)
; SGPRBlocks: 2
; VGPRBlocks: 1
; NumSGPRsForWavesPerEU: 18
; NumVGPRsForWavesPerEU: 16
; Occupancy: 16
; WaveLimiterHint : 1
; COMPUTE_PGM_RSRC2:SCRATCH_EN: 0
; COMPUTE_PGM_RSRC2:USER_SGPR: 15
; COMPUTE_PGM_RSRC2:TRAP_HANDLER: 0
; COMPUTE_PGM_RSRC2:TGID_X_EN: 1
; COMPUTE_PGM_RSRC2:TGID_Y_EN: 0
; COMPUTE_PGM_RSRC2:TGID_Z_EN: 0
; COMPUTE_PGM_RSRC2:TIDIG_COMP_CNT: 0
	.section	.text._Z6kernelI18scatter_to_blockedN15benchmark_utils11custom_typeIddEELj256ELj4ELj100EEvPKT0_PKjPS4_,"axG",@progbits,_Z6kernelI18scatter_to_blockedN15benchmark_utils11custom_typeIddEELj256ELj4ELj100EEvPKT0_PKjPS4_,comdat
	.protected	_Z6kernelI18scatter_to_blockedN15benchmark_utils11custom_typeIddEELj256ELj4ELj100EEvPKT0_PKjPS4_ ; -- Begin function _Z6kernelI18scatter_to_blockedN15benchmark_utils11custom_typeIddEELj256ELj4ELj100EEvPKT0_PKjPS4_
	.globl	_Z6kernelI18scatter_to_blockedN15benchmark_utils11custom_typeIddEELj256ELj4ELj100EEvPKT0_PKjPS4_
	.p2align	8
	.type	_Z6kernelI18scatter_to_blockedN15benchmark_utils11custom_typeIddEELj256ELj4ELj100EEvPKT0_PKjPS4_,@function
_Z6kernelI18scatter_to_blockedN15benchmark_utils11custom_typeIddEELj256ELj4ELj100EEvPKT0_PKjPS4_: ; @_Z6kernelI18scatter_to_blockedN15benchmark_utils11custom_typeIddEELj256ELj4ELj100EEvPKT0_PKjPS4_
; %bb.0:
	s_load_b128 s[4:7], s[0:1], 0x0
	s_mov_b32 s9, 0
	s_lshl_b32 s8, s15, 10
	v_lshlrev_b32_e32 v17, 2, v0
	s_lshl_b64 s[2:3], s[8:9], 4
	v_lshlrev_b32_e32 v13, 4, v0
	s_load_b64 s[0:1], s[0:1], 0x10
	v_lshrrev_b32_e32 v26, 3, v0
	s_waitcnt lgkmcnt(0)
	s_add_u32 s4, s4, s2
	s_addc_u32 s5, s5, s3
	s_lshl_b64 s[8:9], s[8:9], 2
	s_delay_alu instid0(SALU_CYCLE_1)
	s_add_u32 s6, s6, s8
	s_addc_u32 s7, s7, s9
	s_clause 0x3
	global_load_b32 v18, v17, s[6:7]
	global_load_b32 v19, v17, s[6:7] offset:1024
	global_load_b32 v20, v17, s[6:7] offset:2048
	;; [unrolled: 1-line block ×3, first 2 shown]
	v_add_co_u32 v3, s6, s4, v13
	s_delay_alu instid0(VALU_DEP_1) | instskip(NEXT) | instid1(VALU_DEP_2)
	v_add_co_ci_u32_e64 v4, null, s5, 0, s6
	v_add_co_u32 v1, vcc_lo, v3, 0x2000
	s_delay_alu instid0(VALU_DEP_2)
	v_add_co_ci_u32_e32 v2, vcc_lo, 0, v4, vcc_lo
	v_add_co_u32 v3, vcc_lo, 0x3000, v3
	v_add_co_ci_u32_e32 v4, vcc_lo, 0, v4, vcc_lo
	s_clause 0x3
	global_load_b128 v[9:12], v[1:2], off offset:-4096
	global_load_b128 v[5:8], v[1:2], off
	global_load_b128 v[13:16], v13, s[4:5]
	global_load_b128 v[1:4], v[3:4], off
	s_movk_i32 s4, 0x64
	s_waitcnt vmcnt(7)
	v_lshrrev_b32_e32 v22, 1, v18
	s_waitcnt vmcnt(6)
	v_lshrrev_b32_e32 v23, 1, v19
	;; [unrolled: 2-line block ×4, first 2 shown]
	v_and_b32_e32 v22, 0x7ffffff0, v22
	v_and_b32_e32 v23, 0x7ffffff0, v23
	;; [unrolled: 1-line block ×3, first 2 shown]
	s_delay_alu instid0(VALU_DEP_4) | instskip(NEXT) | instid1(VALU_DEP_4)
	v_and_b32_e32 v25, 0x7ffffff0, v25
	v_lshl_add_u32 v0, v18, 4, v22
	s_delay_alu instid0(VALU_DEP_4) | instskip(NEXT) | instid1(VALU_DEP_4)
	v_lshl_add_u32 v18, v19, 4, v23
	v_lshl_add_u32 v19, v20, 4, v24
	s_delay_alu instid0(VALU_DEP_4)
	v_lshl_add_u32 v20, v21, 4, v25
	v_add_lshl_u32 v21, v26, v17, 4
	.p2align	6
.LBB147_1:                              ; =>This Inner Loop Header: Depth=1
	s_waitcnt vmcnt(1)
	ds_store_b128 v0, v[13:16]
	ds_store_b128 v18, v[9:12]
	;; [unrolled: 1-line block ×3, first 2 shown]
	s_waitcnt vmcnt(0)
	ds_store_b128 v20, v[1:4]
	s_waitcnt lgkmcnt(0)
	s_barrier
	buffer_gl0_inv
	ds_load_b128 v[13:16], v21
	ds_load_b128 v[9:12], v21 offset:16
	ds_load_b128 v[5:8], v21 offset:32
	;; [unrolled: 1-line block ×3, first 2 shown]
	s_add_i32 s4, s4, -1
	s_waitcnt lgkmcnt(0)
	s_cmp_lg_u32 s4, 0
	s_barrier
	buffer_gl0_inv
	s_cbranch_scc1 .LBB147_1
; %bb.2:
	v_lshlrev_b32_e32 v0, 4, v17
	s_add_u32 s0, s0, s2
	s_addc_u32 s1, s1, s3
	s_clause 0x3
	global_store_b128 v0, v[13:16], s[0:1]
	global_store_b128 v0, v[9:12], s[0:1] offset:16
	global_store_b128 v0, v[5:8], s[0:1] offset:32
	;; [unrolled: 1-line block ×3, first 2 shown]
	s_nop 0
	s_sendmsg sendmsg(MSG_DEALLOC_VGPRS)
	s_endpgm
	.section	.rodata,"a",@progbits
	.p2align	6, 0x0
	.amdhsa_kernel _Z6kernelI18scatter_to_blockedN15benchmark_utils11custom_typeIddEELj256ELj4ELj100EEvPKT0_PKjPS4_
		.amdhsa_group_segment_fixed_size 16896
		.amdhsa_private_segment_fixed_size 0
		.amdhsa_kernarg_size 24
		.amdhsa_user_sgpr_count 15
		.amdhsa_user_sgpr_dispatch_ptr 0
		.amdhsa_user_sgpr_queue_ptr 0
		.amdhsa_user_sgpr_kernarg_segment_ptr 1
		.amdhsa_user_sgpr_dispatch_id 0
		.amdhsa_user_sgpr_private_segment_size 0
		.amdhsa_wavefront_size32 1
		.amdhsa_uses_dynamic_stack 0
		.amdhsa_enable_private_segment 0
		.amdhsa_system_sgpr_workgroup_id_x 1
		.amdhsa_system_sgpr_workgroup_id_y 0
		.amdhsa_system_sgpr_workgroup_id_z 0
		.amdhsa_system_sgpr_workgroup_info 0
		.amdhsa_system_vgpr_workitem_id 0
		.amdhsa_next_free_vgpr 27
		.amdhsa_next_free_sgpr 16
		.amdhsa_reserve_vcc 1
		.amdhsa_float_round_mode_32 0
		.amdhsa_float_round_mode_16_64 0
		.amdhsa_float_denorm_mode_32 3
		.amdhsa_float_denorm_mode_16_64 3
		.amdhsa_dx10_clamp 1
		.amdhsa_ieee_mode 1
		.amdhsa_fp16_overflow 0
		.amdhsa_workgroup_processor_mode 1
		.amdhsa_memory_ordered 1
		.amdhsa_forward_progress 0
		.amdhsa_shared_vgpr_count 0
		.amdhsa_exception_fp_ieee_invalid_op 0
		.amdhsa_exception_fp_denorm_src 0
		.amdhsa_exception_fp_ieee_div_zero 0
		.amdhsa_exception_fp_ieee_overflow 0
		.amdhsa_exception_fp_ieee_underflow 0
		.amdhsa_exception_fp_ieee_inexact 0
		.amdhsa_exception_int_div_zero 0
	.end_amdhsa_kernel
	.section	.text._Z6kernelI18scatter_to_blockedN15benchmark_utils11custom_typeIddEELj256ELj4ELj100EEvPKT0_PKjPS4_,"axG",@progbits,_Z6kernelI18scatter_to_blockedN15benchmark_utils11custom_typeIddEELj256ELj4ELj100EEvPKT0_PKjPS4_,comdat
.Lfunc_end147:
	.size	_Z6kernelI18scatter_to_blockedN15benchmark_utils11custom_typeIddEELj256ELj4ELj100EEvPKT0_PKjPS4_, .Lfunc_end147-_Z6kernelI18scatter_to_blockedN15benchmark_utils11custom_typeIddEELj256ELj4ELj100EEvPKT0_PKjPS4_
                                        ; -- End function
	.section	.AMDGPU.csdata,"",@progbits
; Kernel info:
; codeLenInByte = 492
; NumSgprs: 18
; NumVgprs: 27
; ScratchSize: 0
; MemoryBound: 0
; FloatMode: 240
; IeeeMode: 1
; LDSByteSize: 16896 bytes/workgroup (compile time only)
; SGPRBlocks: 2
; VGPRBlocks: 3
; NumSGPRsForWavesPerEU: 18
; NumVGPRsForWavesPerEU: 27
; Occupancy: 14
; WaveLimiterHint : 1
; COMPUTE_PGM_RSRC2:SCRATCH_EN: 0
; COMPUTE_PGM_RSRC2:USER_SGPR: 15
; COMPUTE_PGM_RSRC2:TRAP_HANDLER: 0
; COMPUTE_PGM_RSRC2:TGID_X_EN: 1
; COMPUTE_PGM_RSRC2:TGID_Y_EN: 0
; COMPUTE_PGM_RSRC2:TGID_Z_EN: 0
; COMPUTE_PGM_RSRC2:TIDIG_COMP_CNT: 0
	.section	.text._Z6kernelI18scatter_to_blockedN15benchmark_utils11custom_typeIddEELj256ELj7ELj100EEvPKT0_PKjPS4_,"axG",@progbits,_Z6kernelI18scatter_to_blockedN15benchmark_utils11custom_typeIddEELj256ELj7ELj100EEvPKT0_PKjPS4_,comdat
	.protected	_Z6kernelI18scatter_to_blockedN15benchmark_utils11custom_typeIddEELj256ELj7ELj100EEvPKT0_PKjPS4_ ; -- Begin function _Z6kernelI18scatter_to_blockedN15benchmark_utils11custom_typeIddEELj256ELj7ELj100EEvPKT0_PKjPS4_
	.globl	_Z6kernelI18scatter_to_blockedN15benchmark_utils11custom_typeIddEELj256ELj7ELj100EEvPKT0_PKjPS4_
	.p2align	8
	.type	_Z6kernelI18scatter_to_blockedN15benchmark_utils11custom_typeIddEELj256ELj7ELj100EEvPKT0_PKjPS4_,@function
_Z6kernelI18scatter_to_blockedN15benchmark_utils11custom_typeIddEELj256ELj7ELj100EEvPKT0_PKjPS4_: ; @_Z6kernelI18scatter_to_blockedN15benchmark_utils11custom_typeIddEELj256ELj7ELj100EEvPKT0_PKjPS4_
; %bb.0:
	s_load_b128 s[4:7], s[0:1], 0x0
	s_mov_b32 s9, 0
	s_mul_i32 s8, s15, 0x700
	v_lshlrev_b32_e32 v1, 4, v0
	s_lshl_b64 s[2:3], s[8:9], 4
	v_lshlrev_b32_e32 v9, 2, v0
	s_load_b64 s[0:1], s[0:1], 0x10
	v_mul_u32_u24_e32 v0, 7, v0
	s_delay_alu instid0(VALU_DEP_1) | instskip(SKIP_4) | instid1(VALU_DEP_1)
	v_lshlrev_b32_e32 v0, 4, v0
	s_waitcnt lgkmcnt(0)
	s_add_u32 s4, s4, s2
	s_addc_u32 s5, s5, s3
	v_add_co_u32 v3, s10, s4, v1
	v_add_co_ci_u32_e64 v4, null, s5, 0, s10
	s_lshl_b64 s[8:9], s[8:9], 2
	global_load_b128 v[5:8], v1, s[4:5]
	v_add_co_u32 v1, vcc_lo, v3, 0x2000
	s_add_u32 s4, s6, s8
	v_add_co_ci_u32_e32 v2, vcc_lo, 0, v4, vcc_lo
	v_add_co_u32 v13, vcc_lo, v3, 0x4000
	s_addc_u32 s5, s7, s9
	v_add_co_u32 v10, s6, s4, v9
	v_add_co_ci_u32_e32 v14, vcc_lo, 0, v4, vcc_lo
	v_add_co_ci_u32_e64 v11, null, s5, 0, s6
	v_add_co_u32 v15, vcc_lo, v3, 0x6000
	v_add_co_ci_u32_e32 v16, vcc_lo, 0, v4, vcc_lo
	v_add_co_u32 v3, vcc_lo, 0x1000, v10
	s_delay_alu instid0(VALU_DEP_4)
	v_add_co_ci_u32_e32 v4, vcc_lo, 0, v11, vcc_lo
	s_clause 0x6
	global_load_b32 v29, v9, s[4:5]
	global_load_b32 v30, v9, s[4:5] offset:1024
	global_load_b32 v31, v9, s[4:5] offset:2048
	;; [unrolled: 1-line block ×3, first 2 shown]
	global_load_b32 v33, v[3:4], off
	global_load_b32 v34, v[3:4], off offset:1024
	global_load_b32 v35, v[3:4], off offset:2048
	s_clause 0x5
	global_load_b128 v[17:20], v[1:2], off offset:-4096
	global_load_b128 v[9:12], v[1:2], off
	global_load_b128 v[1:4], v[13:14], off offset:-4096
	global_load_b128 v[25:28], v[13:14], off
	;; [unrolled: 2-line block ×3, first 2 shown]
	s_movk_i32 s4, 0x64
	s_waitcnt vmcnt(12)
	v_lshlrev_b32_e32 v29, 4, v29
	s_waitcnt vmcnt(11)
	v_lshlrev_b32_e32 v30, 4, v30
	;; [unrolled: 2-line block ×7, first 2 shown]
	s_set_inst_prefetch_distance 0x1
	.p2align	6
.LBB148_1:                              ; =>This Inner Loop Header: Depth=1
	ds_store_b128 v29, v[5:8]
	s_waitcnt vmcnt(5)
	ds_store_b128 v30, v[17:20]
	s_waitcnt vmcnt(4)
	;; [unrolled: 2-line block ×6, first 2 shown]
	ds_store_b128 v35, v[13:16]
	s_waitcnt lgkmcnt(0)
	s_barrier
	buffer_gl0_inv
	ds_load_b128 v[5:8], v0
	ds_load_b128 v[17:20], v0 offset:16
	ds_load_b128 v[9:12], v0 offset:32
	;; [unrolled: 1-line block ×6, first 2 shown]
	s_add_i32 s4, s4, -1
	s_waitcnt lgkmcnt(0)
	s_cmp_lg_u32 s4, 0
	s_barrier
	buffer_gl0_inv
	s_cbranch_scc1 .LBB148_1
; %bb.2:
	s_set_inst_prefetch_distance 0x2
	s_add_u32 s0, s0, s2
	s_addc_u32 s1, s1, s3
	s_clause 0x6
	global_store_b128 v0, v[5:8], s[0:1]
	global_store_b128 v0, v[17:20], s[0:1] offset:16
	global_store_b128 v0, v[9:12], s[0:1] offset:32
	;; [unrolled: 1-line block ×6, first 2 shown]
	s_nop 0
	s_sendmsg sendmsg(MSG_DEALLOC_VGPRS)
	s_endpgm
	.section	.rodata,"a",@progbits
	.p2align	6, 0x0
	.amdhsa_kernel _Z6kernelI18scatter_to_blockedN15benchmark_utils11custom_typeIddEELj256ELj7ELj100EEvPKT0_PKjPS4_
		.amdhsa_group_segment_fixed_size 28672
		.amdhsa_private_segment_fixed_size 0
		.amdhsa_kernarg_size 24
		.amdhsa_user_sgpr_count 15
		.amdhsa_user_sgpr_dispatch_ptr 0
		.amdhsa_user_sgpr_queue_ptr 0
		.amdhsa_user_sgpr_kernarg_segment_ptr 1
		.amdhsa_user_sgpr_dispatch_id 0
		.amdhsa_user_sgpr_private_segment_size 0
		.amdhsa_wavefront_size32 1
		.amdhsa_uses_dynamic_stack 0
		.amdhsa_enable_private_segment 0
		.amdhsa_system_sgpr_workgroup_id_x 1
		.amdhsa_system_sgpr_workgroup_id_y 0
		.amdhsa_system_sgpr_workgroup_id_z 0
		.amdhsa_system_sgpr_workgroup_info 0
		.amdhsa_system_vgpr_workitem_id 0
		.amdhsa_next_free_vgpr 36
		.amdhsa_next_free_sgpr 16
		.amdhsa_reserve_vcc 1
		.amdhsa_float_round_mode_32 0
		.amdhsa_float_round_mode_16_64 0
		.amdhsa_float_denorm_mode_32 3
		.amdhsa_float_denorm_mode_16_64 3
		.amdhsa_dx10_clamp 1
		.amdhsa_ieee_mode 1
		.amdhsa_fp16_overflow 0
		.amdhsa_workgroup_processor_mode 1
		.amdhsa_memory_ordered 1
		.amdhsa_forward_progress 0
		.amdhsa_shared_vgpr_count 0
		.amdhsa_exception_fp_ieee_invalid_op 0
		.amdhsa_exception_fp_denorm_src 0
		.amdhsa_exception_fp_ieee_div_zero 0
		.amdhsa_exception_fp_ieee_overflow 0
		.amdhsa_exception_fp_ieee_underflow 0
		.amdhsa_exception_fp_ieee_inexact 0
		.amdhsa_exception_int_div_zero 0
	.end_amdhsa_kernel
	.section	.text._Z6kernelI18scatter_to_blockedN15benchmark_utils11custom_typeIddEELj256ELj7ELj100EEvPKT0_PKjPS4_,"axG",@progbits,_Z6kernelI18scatter_to_blockedN15benchmark_utils11custom_typeIddEELj256ELj7ELj100EEvPKT0_PKjPS4_,comdat
.Lfunc_end148:
	.size	_Z6kernelI18scatter_to_blockedN15benchmark_utils11custom_typeIddEELj256ELj7ELj100EEvPKT0_PKjPS4_, .Lfunc_end148-_Z6kernelI18scatter_to_blockedN15benchmark_utils11custom_typeIddEELj256ELj7ELj100EEvPKT0_PKjPS4_
                                        ; -- End function
	.section	.AMDGPU.csdata,"",@progbits
; Kernel info:
; codeLenInByte = 624
; NumSgprs: 18
; NumVgprs: 36
; ScratchSize: 0
; MemoryBound: 1
; FloatMode: 240
; IeeeMode: 1
; LDSByteSize: 28672 bytes/workgroup (compile time only)
; SGPRBlocks: 2
; VGPRBlocks: 4
; NumSGPRsForWavesPerEU: 18
; NumVGPRsForWavesPerEU: 36
; Occupancy: 8
; WaveLimiterHint : 1
; COMPUTE_PGM_RSRC2:SCRATCH_EN: 0
; COMPUTE_PGM_RSRC2:USER_SGPR: 15
; COMPUTE_PGM_RSRC2:TRAP_HANDLER: 0
; COMPUTE_PGM_RSRC2:TGID_X_EN: 1
; COMPUTE_PGM_RSRC2:TGID_Y_EN: 0
; COMPUTE_PGM_RSRC2:TGID_Z_EN: 0
; COMPUTE_PGM_RSRC2:TIDIG_COMP_CNT: 0
	.section	.text._Z6kernelI18scatter_to_blockedN15benchmark_utils11custom_typeIddEELj256ELj8ELj100EEvPKT0_PKjPS4_,"axG",@progbits,_Z6kernelI18scatter_to_blockedN15benchmark_utils11custom_typeIddEELj256ELj8ELj100EEvPKT0_PKjPS4_,comdat
	.protected	_Z6kernelI18scatter_to_blockedN15benchmark_utils11custom_typeIddEELj256ELj8ELj100EEvPKT0_PKjPS4_ ; -- Begin function _Z6kernelI18scatter_to_blockedN15benchmark_utils11custom_typeIddEELj256ELj8ELj100EEvPKT0_PKjPS4_
	.globl	_Z6kernelI18scatter_to_blockedN15benchmark_utils11custom_typeIddEELj256ELj8ELj100EEvPKT0_PKjPS4_
	.p2align	8
	.type	_Z6kernelI18scatter_to_blockedN15benchmark_utils11custom_typeIddEELj256ELj8ELj100EEvPKT0_PKjPS4_,@function
_Z6kernelI18scatter_to_blockedN15benchmark_utils11custom_typeIddEELj256ELj8ELj100EEvPKT0_PKjPS4_: ; @_Z6kernelI18scatter_to_blockedN15benchmark_utils11custom_typeIddEELj256ELj8ELj100EEvPKT0_PKjPS4_
; %bb.0:
	s_load_b128 s[4:7], s[0:1], 0x0
	s_mov_b32 s9, 0
	s_lshl_b32 s8, s15, 11
	v_lshlrev_b32_e32 v29, 4, v0
	s_lshl_b64 s[2:3], s[8:9], 4
	v_lshlrev_b32_e32 v1, 2, v0
	s_load_b64 s[0:1], s[0:1], 0x10
	v_lshrrev_b32_e32 v46, 2, v0
	s_waitcnt lgkmcnt(0)
	s_add_u32 s4, s4, s2
	s_addc_u32 s5, s5, s3
	s_lshl_b64 s[8:9], s[8:9], 2
	v_add_co_u32 v5, s10, s4, v29
	s_add_u32 s6, s6, s8
	v_add_co_ci_u32_e64 v6, null, s5, 0, s10
	s_addc_u32 s7, s7, s9
	v_add_co_u32 v3, s8, s6, v1
	s_delay_alu instid0(VALU_DEP_1)
	v_add_co_ci_u32_e64 v4, null, s7, 0, s8
	s_clause 0x3
	global_load_b32 v35, v1, s[6:7]
	global_load_b32 v36, v1, s[6:7] offset:1024
	global_load_b32 v37, v1, s[6:7] offset:2048
	;; [unrolled: 1-line block ×3, first 2 shown]
	v_add_co_u32 v1, vcc_lo, v5, 0x2000
	v_add_co_ci_u32_e32 v2, vcc_lo, 0, v6, vcc_lo
	v_add_co_u32 v3, vcc_lo, 0x1000, v3
	v_add_co_ci_u32_e32 v4, vcc_lo, 0, v4, vcc_lo
	s_clause 0x3
	global_load_b32 v39, v[3:4], off
	global_load_b32 v40, v[3:4], off offset:1024
	global_load_b32 v41, v[3:4], off offset:2048
	;; [unrolled: 1-line block ×3, first 2 shown]
	v_add_co_u32 v9, vcc_lo, v5, 0x4000
	v_add_co_ci_u32_e32 v10, vcc_lo, 0, v6, vcc_lo
	v_add_co_u32 v11, vcc_lo, v5, 0x6000
	v_add_co_ci_u32_e32 v12, vcc_lo, 0, v6, vcc_lo
	;; [unrolled: 2-line block ×3, first 2 shown]
	s_clause 0x7
	global_load_b128 v[17:20], v[1:2], off offset:-4096
	global_load_b128 v[5:8], v[1:2], off
	global_load_b128 v[1:4], v[9:10], off offset:-4096
	global_load_b128 v[25:28], v[9:10], off
	;; [unrolled: 2-line block ×3, first 2 shown]
	global_load_b128 v[29:32], v29, s[4:5]
	global_load_b128 v[9:12], v[33:34], off
	v_lshlrev_b32_e32 v33, 3, v0
	s_movk_i32 s4, 0x64
	s_waitcnt vmcnt(15)
	v_lshrrev_b32_e32 v34, 1, v35
	s_waitcnt vmcnt(14)
	v_lshrrev_b32_e32 v43, 1, v36
	s_waitcnt vmcnt(13)
	v_lshrrev_b32_e32 v44, 1, v37
	s_waitcnt vmcnt(12)
	v_lshrrev_b32_e32 v45, 1, v38
	v_and_b32_e32 v34, 0x7ffffff0, v34
	v_and_b32_e32 v43, 0x7ffffff0, v43
	;; [unrolled: 1-line block ×3, first 2 shown]
	s_delay_alu instid0(VALU_DEP_4) | instskip(NEXT) | instid1(VALU_DEP_4)
	v_and_b32_e32 v45, 0x7ffffff0, v45
	v_lshl_add_u32 v0, v35, 4, v34
	s_delay_alu instid0(VALU_DEP_4)
	v_lshl_add_u32 v34, v36, 4, v43
	s_waitcnt vmcnt(11)
	v_lshrrev_b32_e32 v36, 1, v39
	s_waitcnt vmcnt(10)
	v_lshrrev_b32_e32 v43, 1, v40
	;; [unrolled: 2-line block ×4, first 2 shown]
	v_lshl_add_u32 v35, v37, 4, v44
	v_and_b32_e32 v37, 0x7ffffff0, v36
	v_and_b32_e32 v43, 0x7ffffff0, v43
	;; [unrolled: 1-line block ×4, first 2 shown]
	v_lshl_add_u32 v36, v38, 4, v45
	v_lshl_add_u32 v37, v39, 4, v37
	;; [unrolled: 1-line block ×5, first 2 shown]
	v_add_lshl_u32 v41, v46, v33, 4
	s_set_inst_prefetch_distance 0x1
	.p2align	6
.LBB149_1:                              ; =>This Inner Loop Header: Depth=1
	s_waitcnt vmcnt(1)
	ds_store_b128 v0, v[29:32]
	ds_store_b128 v34, v[17:20]
	;; [unrolled: 1-line block ×7, first 2 shown]
	s_waitcnt vmcnt(0)
	ds_store_b128 v40, v[9:12]
	s_waitcnt lgkmcnt(0)
	s_barrier
	buffer_gl0_inv
	ds_load_b128 v[29:32], v41
	ds_load_b128 v[17:20], v41 offset:16
	ds_load_b128 v[5:8], v41 offset:32
	;; [unrolled: 1-line block ×7, first 2 shown]
	s_add_i32 s4, s4, -1
	s_waitcnt lgkmcnt(0)
	s_cmp_lg_u32 s4, 0
	s_barrier
	buffer_gl0_inv
	s_cbranch_scc1 .LBB149_1
; %bb.2:
	s_set_inst_prefetch_distance 0x2
	v_lshlrev_b32_e32 v0, 4, v33
	s_add_u32 s0, s0, s2
	s_addc_u32 s1, s1, s3
	s_clause 0x7
	global_store_b128 v0, v[29:32], s[0:1]
	global_store_b128 v0, v[17:20], s[0:1] offset:16
	global_store_b128 v0, v[5:8], s[0:1] offset:32
	global_store_b128 v0, v[1:4], s[0:1] offset:48
	global_store_b128 v0, v[25:28], s[0:1] offset:64
	global_store_b128 v0, v[21:24], s[0:1] offset:80
	global_store_b128 v0, v[13:16], s[0:1] offset:96
	global_store_b128 v0, v[9:12], s[0:1] offset:112
	s_nop 0
	s_sendmsg sendmsg(MSG_DEALLOC_VGPRS)
	s_endpgm
	.section	.rodata,"a",@progbits
	.p2align	6, 0x0
	.amdhsa_kernel _Z6kernelI18scatter_to_blockedN15benchmark_utils11custom_typeIddEELj256ELj8ELj100EEvPKT0_PKjPS4_
		.amdhsa_group_segment_fixed_size 33792
		.amdhsa_private_segment_fixed_size 0
		.amdhsa_kernarg_size 24
		.amdhsa_user_sgpr_count 15
		.amdhsa_user_sgpr_dispatch_ptr 0
		.amdhsa_user_sgpr_queue_ptr 0
		.amdhsa_user_sgpr_kernarg_segment_ptr 1
		.amdhsa_user_sgpr_dispatch_id 0
		.amdhsa_user_sgpr_private_segment_size 0
		.amdhsa_wavefront_size32 1
		.amdhsa_uses_dynamic_stack 0
		.amdhsa_enable_private_segment 0
		.amdhsa_system_sgpr_workgroup_id_x 1
		.amdhsa_system_sgpr_workgroup_id_y 0
		.amdhsa_system_sgpr_workgroup_id_z 0
		.amdhsa_system_sgpr_workgroup_info 0
		.amdhsa_system_vgpr_workitem_id 0
		.amdhsa_next_free_vgpr 49
		.amdhsa_next_free_sgpr 16
		.amdhsa_reserve_vcc 1
		.amdhsa_float_round_mode_32 0
		.amdhsa_float_round_mode_16_64 0
		.amdhsa_float_denorm_mode_32 3
		.amdhsa_float_denorm_mode_16_64 3
		.amdhsa_dx10_clamp 1
		.amdhsa_ieee_mode 1
		.amdhsa_fp16_overflow 0
		.amdhsa_workgroup_processor_mode 1
		.amdhsa_memory_ordered 1
		.amdhsa_forward_progress 0
		.amdhsa_shared_vgpr_count 0
		.amdhsa_exception_fp_ieee_invalid_op 0
		.amdhsa_exception_fp_denorm_src 0
		.amdhsa_exception_fp_ieee_div_zero 0
		.amdhsa_exception_fp_ieee_overflow 0
		.amdhsa_exception_fp_ieee_underflow 0
		.amdhsa_exception_fp_ieee_inexact 0
		.amdhsa_exception_int_div_zero 0
	.end_amdhsa_kernel
	.section	.text._Z6kernelI18scatter_to_blockedN15benchmark_utils11custom_typeIddEELj256ELj8ELj100EEvPKT0_PKjPS4_,"axG",@progbits,_Z6kernelI18scatter_to_blockedN15benchmark_utils11custom_typeIddEELj256ELj8ELj100EEvPKT0_PKjPS4_,comdat
.Lfunc_end149:
	.size	_Z6kernelI18scatter_to_blockedN15benchmark_utils11custom_typeIddEELj256ELj8ELj100EEvPKT0_PKjPS4_, .Lfunc_end149-_Z6kernelI18scatter_to_blockedN15benchmark_utils11custom_typeIddEELj256ELj8ELj100EEvPKT0_PKjPS4_
                                        ; -- End function
	.section	.AMDGPU.csdata,"",@progbits
; Kernel info:
; codeLenInByte = 816
; NumSgprs: 18
; NumVgprs: 49
; ScratchSize: 0
; MemoryBound: 0
; FloatMode: 240
; IeeeMode: 1
; LDSByteSize: 33792 bytes/workgroup (compile time only)
; SGPRBlocks: 2
; VGPRBlocks: 6
; NumSGPRsForWavesPerEU: 18
; NumVGPRsForWavesPerEU: 49
; Occupancy: 6
; WaveLimiterHint : 1
; COMPUTE_PGM_RSRC2:SCRATCH_EN: 0
; COMPUTE_PGM_RSRC2:USER_SGPR: 15
; COMPUTE_PGM_RSRC2:TRAP_HANDLER: 0
; COMPUTE_PGM_RSRC2:TGID_X_EN: 1
; COMPUTE_PGM_RSRC2:TGID_Y_EN: 0
; COMPUTE_PGM_RSRC2:TGID_Z_EN: 0
; COMPUTE_PGM_RSRC2:TIDIG_COMP_CNT: 0
	.section	.text._Z6kernelI18scatter_to_stripediLj256ELj1ELj100EEvPKT0_PKjPS1_,"axG",@progbits,_Z6kernelI18scatter_to_stripediLj256ELj1ELj100EEvPKT0_PKjPS1_,comdat
	.protected	_Z6kernelI18scatter_to_stripediLj256ELj1ELj100EEvPKT0_PKjPS1_ ; -- Begin function _Z6kernelI18scatter_to_stripediLj256ELj1ELj100EEvPKT0_PKjPS1_
	.globl	_Z6kernelI18scatter_to_stripediLj256ELj1ELj100EEvPKT0_PKjPS1_
	.p2align	8
	.type	_Z6kernelI18scatter_to_stripediLj256ELj1ELj100EEvPKT0_PKjPS1_,@function
_Z6kernelI18scatter_to_stripediLj256ELj1ELj100EEvPKT0_PKjPS1_: ; @_Z6kernelI18scatter_to_stripediLj256ELj1ELj100EEvPKT0_PKjPS1_
; %bb.0:
	s_load_b128 s[4:7], s[0:1], 0x0
	s_mov_b32 s3, 0
	s_lshl_b32 s2, s15, 8
	v_lshlrev_b32_e32 v1, 2, v0
	s_lshl_b64 s[2:3], s[2:3], 2
	s_load_b64 s[0:1], s[0:1], 0x10
	s_waitcnt lgkmcnt(0)
	s_add_u32 s4, s4, s2
	s_addc_u32 s5, s5, s3
	s_add_u32 s6, s6, s2
	s_addc_u32 s7, s7, s3
	s_clause 0x1
	global_load_b32 v3, v1, s[6:7]
	global_load_b32 v2, v1, s[4:5]
	s_movk_i32 s4, 0x64
	s_waitcnt vmcnt(1)
	v_lshlrev_b32_e32 v3, 2, v3
.LBB150_1:                              ; =>This Inner Loop Header: Depth=1
	s_waitcnt vmcnt(0)
	ds_store_b32 v3, v2
	s_waitcnt lgkmcnt(0)
	s_barrier
	buffer_gl0_inv
	ds_load_b32 v2, v1
	s_add_i32 s4, s4, -1
	s_waitcnt lgkmcnt(0)
	s_cmp_lg_u32 s4, 0
	s_barrier
	buffer_gl0_inv
	s_cbranch_scc1 .LBB150_1
; %bb.2:
	v_lshlrev_b32_e32 v0, 2, v0
	s_add_u32 s0, s0, s2
	s_addc_u32 s1, s1, s3
	global_store_b32 v0, v2, s[0:1]
	s_nop 0
	s_sendmsg sendmsg(MSG_DEALLOC_VGPRS)
	s_endpgm
	.section	.rodata,"a",@progbits
	.p2align	6, 0x0
	.amdhsa_kernel _Z6kernelI18scatter_to_stripediLj256ELj1ELj100EEvPKT0_PKjPS1_
		.amdhsa_group_segment_fixed_size 1024
		.amdhsa_private_segment_fixed_size 0
		.amdhsa_kernarg_size 24
		.amdhsa_user_sgpr_count 15
		.amdhsa_user_sgpr_dispatch_ptr 0
		.amdhsa_user_sgpr_queue_ptr 0
		.amdhsa_user_sgpr_kernarg_segment_ptr 1
		.amdhsa_user_sgpr_dispatch_id 0
		.amdhsa_user_sgpr_private_segment_size 0
		.amdhsa_wavefront_size32 1
		.amdhsa_uses_dynamic_stack 0
		.amdhsa_enable_private_segment 0
		.amdhsa_system_sgpr_workgroup_id_x 1
		.amdhsa_system_sgpr_workgroup_id_y 0
		.amdhsa_system_sgpr_workgroup_id_z 0
		.amdhsa_system_sgpr_workgroup_info 0
		.amdhsa_system_vgpr_workitem_id 0
		.amdhsa_next_free_vgpr 4
		.amdhsa_next_free_sgpr 16
		.amdhsa_reserve_vcc 0
		.amdhsa_float_round_mode_32 0
		.amdhsa_float_round_mode_16_64 0
		.amdhsa_float_denorm_mode_32 3
		.amdhsa_float_denorm_mode_16_64 3
		.amdhsa_dx10_clamp 1
		.amdhsa_ieee_mode 1
		.amdhsa_fp16_overflow 0
		.amdhsa_workgroup_processor_mode 1
		.amdhsa_memory_ordered 1
		.amdhsa_forward_progress 0
		.amdhsa_shared_vgpr_count 0
		.amdhsa_exception_fp_ieee_invalid_op 0
		.amdhsa_exception_fp_denorm_src 0
		.amdhsa_exception_fp_ieee_div_zero 0
		.amdhsa_exception_fp_ieee_overflow 0
		.amdhsa_exception_fp_ieee_underflow 0
		.amdhsa_exception_fp_ieee_inexact 0
		.amdhsa_exception_int_div_zero 0
	.end_amdhsa_kernel
	.section	.text._Z6kernelI18scatter_to_stripediLj256ELj1ELj100EEvPKT0_PKjPS1_,"axG",@progbits,_Z6kernelI18scatter_to_stripediLj256ELj1ELj100EEvPKT0_PKjPS1_,comdat
.Lfunc_end150:
	.size	_Z6kernelI18scatter_to_stripediLj256ELj1ELj100EEvPKT0_PKjPS1_, .Lfunc_end150-_Z6kernelI18scatter_to_stripediLj256ELj1ELj100EEvPKT0_PKjPS1_
                                        ; -- End function
	.section	.AMDGPU.csdata,"",@progbits
; Kernel info:
; codeLenInByte = 180
; NumSgprs: 16
; NumVgprs: 4
; ScratchSize: 0
; MemoryBound: 0
; FloatMode: 240
; IeeeMode: 1
; LDSByteSize: 1024 bytes/workgroup (compile time only)
; SGPRBlocks: 1
; VGPRBlocks: 0
; NumSGPRsForWavesPerEU: 16
; NumVGPRsForWavesPerEU: 4
; Occupancy: 16
; WaveLimiterHint : 0
; COMPUTE_PGM_RSRC2:SCRATCH_EN: 0
; COMPUTE_PGM_RSRC2:USER_SGPR: 15
; COMPUTE_PGM_RSRC2:TRAP_HANDLER: 0
; COMPUTE_PGM_RSRC2:TGID_X_EN: 1
; COMPUTE_PGM_RSRC2:TGID_Y_EN: 0
; COMPUTE_PGM_RSRC2:TGID_Z_EN: 0
; COMPUTE_PGM_RSRC2:TIDIG_COMP_CNT: 0
	.section	.text._Z6kernelI18scatter_to_stripediLj256ELj2ELj100EEvPKT0_PKjPS1_,"axG",@progbits,_Z6kernelI18scatter_to_stripediLj256ELj2ELj100EEvPKT0_PKjPS1_,comdat
	.protected	_Z6kernelI18scatter_to_stripediLj256ELj2ELj100EEvPKT0_PKjPS1_ ; -- Begin function _Z6kernelI18scatter_to_stripediLj256ELj2ELj100EEvPKT0_PKjPS1_
	.globl	_Z6kernelI18scatter_to_stripediLj256ELj2ELj100EEvPKT0_PKjPS1_
	.p2align	8
	.type	_Z6kernelI18scatter_to_stripediLj256ELj2ELj100EEvPKT0_PKjPS1_,@function
_Z6kernelI18scatter_to_stripediLj256ELj2ELj100EEvPKT0_PKjPS1_: ; @_Z6kernelI18scatter_to_stripediLj256ELj2ELj100EEvPKT0_PKjPS1_
; %bb.0:
	s_load_b128 s[4:7], s[0:1], 0x0
	s_mov_b32 s3, 0
	s_lshl_b32 s2, s15, 9
	v_lshlrev_b32_e32 v3, 2, v0
	s_lshl_b64 s[2:3], s[2:3], 2
	s_load_b64 s[0:1], s[0:1], 0x10
	s_waitcnt lgkmcnt(0)
	s_add_u32 s4, s4, s2
	s_addc_u32 s5, s5, s3
	s_add_u32 s6, s6, s2
	s_addc_u32 s7, s7, s3
	s_clause 0x3
	global_load_b32 v4, v3, s[6:7]
	global_load_b32 v5, v3, s[6:7] offset:1024
	global_load_b32 v1, v3, s[4:5]
	global_load_b32 v2, v3, s[4:5] offset:1024
	s_movk_i32 s4, 0x64
	s_waitcnt vmcnt(3)
	v_lshlrev_b32_e32 v4, 2, v4
	s_waitcnt vmcnt(2)
	v_lshlrev_b32_e32 v5, 2, v5
.LBB151_1:                              ; =>This Inner Loop Header: Depth=1
	s_waitcnt vmcnt(1)
	ds_store_b32 v4, v1
	s_waitcnt vmcnt(0)
	ds_store_b32 v5, v2
	s_waitcnt lgkmcnt(0)
	s_barrier
	buffer_gl0_inv
	ds_load_2addr_stride64_b32 v[1:2], v3 offset1:4
	s_add_i32 s4, s4, -1
	s_waitcnt lgkmcnt(0)
	s_cmp_lg_u32 s4, 0
	s_barrier
	buffer_gl0_inv
	s_cbranch_scc1 .LBB151_1
; %bb.2:
	v_lshlrev_b32_e32 v0, 2, v0
	s_add_u32 s0, s0, s2
	s_addc_u32 s1, s1, s3
	s_clause 0x1
	global_store_b32 v0, v1, s[0:1]
	global_store_b32 v0, v2, s[0:1] offset:1024
	s_nop 0
	s_sendmsg sendmsg(MSG_DEALLOC_VGPRS)
	s_endpgm
	.section	.rodata,"a",@progbits
	.p2align	6, 0x0
	.amdhsa_kernel _Z6kernelI18scatter_to_stripediLj256ELj2ELj100EEvPKT0_PKjPS1_
		.amdhsa_group_segment_fixed_size 2112
		.amdhsa_private_segment_fixed_size 0
		.amdhsa_kernarg_size 24
		.amdhsa_user_sgpr_count 15
		.amdhsa_user_sgpr_dispatch_ptr 0
		.amdhsa_user_sgpr_queue_ptr 0
		.amdhsa_user_sgpr_kernarg_segment_ptr 1
		.amdhsa_user_sgpr_dispatch_id 0
		.amdhsa_user_sgpr_private_segment_size 0
		.amdhsa_wavefront_size32 1
		.amdhsa_uses_dynamic_stack 0
		.amdhsa_enable_private_segment 0
		.amdhsa_system_sgpr_workgroup_id_x 1
		.amdhsa_system_sgpr_workgroup_id_y 0
		.amdhsa_system_sgpr_workgroup_id_z 0
		.amdhsa_system_sgpr_workgroup_info 0
		.amdhsa_system_vgpr_workitem_id 0
		.amdhsa_next_free_vgpr 6
		.amdhsa_next_free_sgpr 16
		.amdhsa_reserve_vcc 0
		.amdhsa_float_round_mode_32 0
		.amdhsa_float_round_mode_16_64 0
		.amdhsa_float_denorm_mode_32 3
		.amdhsa_float_denorm_mode_16_64 3
		.amdhsa_dx10_clamp 1
		.amdhsa_ieee_mode 1
		.amdhsa_fp16_overflow 0
		.amdhsa_workgroup_processor_mode 1
		.amdhsa_memory_ordered 1
		.amdhsa_forward_progress 0
		.amdhsa_shared_vgpr_count 0
		.amdhsa_exception_fp_ieee_invalid_op 0
		.amdhsa_exception_fp_denorm_src 0
		.amdhsa_exception_fp_ieee_div_zero 0
		.amdhsa_exception_fp_ieee_overflow 0
		.amdhsa_exception_fp_ieee_underflow 0
		.amdhsa_exception_fp_ieee_inexact 0
		.amdhsa_exception_int_div_zero 0
	.end_amdhsa_kernel
	.section	.text._Z6kernelI18scatter_to_stripediLj256ELj2ELj100EEvPKT0_PKjPS1_,"axG",@progbits,_Z6kernelI18scatter_to_stripediLj256ELj2ELj100EEvPKT0_PKjPS1_,comdat
.Lfunc_end151:
	.size	_Z6kernelI18scatter_to_stripediLj256ELj2ELj100EEvPKT0_PKjPS1_, .Lfunc_end151-_Z6kernelI18scatter_to_stripediLj256ELj2ELj100EEvPKT0_PKjPS1_
                                        ; -- End function
	.section	.AMDGPU.csdata,"",@progbits
; Kernel info:
; codeLenInByte = 228
; NumSgprs: 16
; NumVgprs: 6
; ScratchSize: 0
; MemoryBound: 0
; FloatMode: 240
; IeeeMode: 1
; LDSByteSize: 2112 bytes/workgroup (compile time only)
; SGPRBlocks: 1
; VGPRBlocks: 0
; NumSGPRsForWavesPerEU: 16
; NumVGPRsForWavesPerEU: 6
; Occupancy: 16
; WaveLimiterHint : 1
; COMPUTE_PGM_RSRC2:SCRATCH_EN: 0
; COMPUTE_PGM_RSRC2:USER_SGPR: 15
; COMPUTE_PGM_RSRC2:TRAP_HANDLER: 0
; COMPUTE_PGM_RSRC2:TGID_X_EN: 1
; COMPUTE_PGM_RSRC2:TGID_Y_EN: 0
; COMPUTE_PGM_RSRC2:TGID_Z_EN: 0
; COMPUTE_PGM_RSRC2:TIDIG_COMP_CNT: 0
	.section	.text._Z6kernelI18scatter_to_stripediLj256ELj3ELj100EEvPKT0_PKjPS1_,"axG",@progbits,_Z6kernelI18scatter_to_stripediLj256ELj3ELj100EEvPKT0_PKjPS1_,comdat
	.protected	_Z6kernelI18scatter_to_stripediLj256ELj3ELj100EEvPKT0_PKjPS1_ ; -- Begin function _Z6kernelI18scatter_to_stripediLj256ELj3ELj100EEvPKT0_PKjPS1_
	.globl	_Z6kernelI18scatter_to_stripediLj256ELj3ELj100EEvPKT0_PKjPS1_
	.p2align	8
	.type	_Z6kernelI18scatter_to_stripediLj256ELj3ELj100EEvPKT0_PKjPS1_,@function
_Z6kernelI18scatter_to_stripediLj256ELj3ELj100EEvPKT0_PKjPS1_: ; @_Z6kernelI18scatter_to_stripediLj256ELj3ELj100EEvPKT0_PKjPS1_
; %bb.0:
	s_load_b128 s[4:7], s[0:1], 0x0
	s_mov_b32 s3, 0
	s_mul_i32 s2, s15, 0x300
	v_lshlrev_b32_e32 v3, 2, v0
	s_lshl_b64 s[2:3], s[2:3], 2
	s_load_b64 s[0:1], s[0:1], 0x10
	s_waitcnt lgkmcnt(0)
	s_add_u32 s4, s4, s2
	s_addc_u32 s5, s5, s3
	s_add_u32 s6, s6, s2
	s_addc_u32 s7, s7, s3
	s_clause 0x5
	global_load_b32 v5, v3, s[6:7]
	global_load_b32 v6, v3, s[6:7] offset:1024
	global_load_b32 v7, v3, s[6:7] offset:2048
	global_load_b32 v1, v3, s[4:5]
	global_load_b32 v2, v3, s[4:5] offset:1024
	global_load_b32 v4, v3, s[4:5] offset:2048
	s_movk_i32 s4, 0x64
	s_waitcnt vmcnt(5)
	v_lshlrev_b32_e32 v5, 2, v5
	s_waitcnt vmcnt(4)
	v_lshlrev_b32_e32 v6, 2, v6
	;; [unrolled: 2-line block ×3, first 2 shown]
.LBB152_1:                              ; =>This Inner Loop Header: Depth=1
	s_waitcnt vmcnt(2)
	ds_store_b32 v5, v1
	s_waitcnt vmcnt(1)
	ds_store_b32 v6, v2
	;; [unrolled: 2-line block ×3, first 2 shown]
	s_waitcnt lgkmcnt(0)
	s_barrier
	buffer_gl0_inv
	ds_load_2addr_stride64_b32 v[1:2], v3 offset1:4
	ds_load_b32 v4, v3 offset:2048
	s_add_i32 s4, s4, -1
	s_waitcnt lgkmcnt(0)
	s_cmp_lg_u32 s4, 0
	s_barrier
	buffer_gl0_inv
	s_cbranch_scc1 .LBB152_1
; %bb.2:
	v_lshlrev_b32_e32 v0, 2, v0
	s_add_u32 s0, s0, s2
	s_addc_u32 s1, s1, s3
	s_clause 0x2
	global_store_b32 v0, v1, s[0:1]
	global_store_b32 v0, v2, s[0:1] offset:1024
	global_store_b32 v0, v4, s[0:1] offset:2048
	s_nop 0
	s_sendmsg sendmsg(MSG_DEALLOC_VGPRS)
	s_endpgm
	.section	.rodata,"a",@progbits
	.p2align	6, 0x0
	.amdhsa_kernel _Z6kernelI18scatter_to_stripediLj256ELj3ELj100EEvPKT0_PKjPS1_
		.amdhsa_group_segment_fixed_size 3072
		.amdhsa_private_segment_fixed_size 0
		.amdhsa_kernarg_size 24
		.amdhsa_user_sgpr_count 15
		.amdhsa_user_sgpr_dispatch_ptr 0
		.amdhsa_user_sgpr_queue_ptr 0
		.amdhsa_user_sgpr_kernarg_segment_ptr 1
		.amdhsa_user_sgpr_dispatch_id 0
		.amdhsa_user_sgpr_private_segment_size 0
		.amdhsa_wavefront_size32 1
		.amdhsa_uses_dynamic_stack 0
		.amdhsa_enable_private_segment 0
		.amdhsa_system_sgpr_workgroup_id_x 1
		.amdhsa_system_sgpr_workgroup_id_y 0
		.amdhsa_system_sgpr_workgroup_id_z 0
		.amdhsa_system_sgpr_workgroup_info 0
		.amdhsa_system_vgpr_workitem_id 0
		.amdhsa_next_free_vgpr 8
		.amdhsa_next_free_sgpr 16
		.amdhsa_reserve_vcc 0
		.amdhsa_float_round_mode_32 0
		.amdhsa_float_round_mode_16_64 0
		.amdhsa_float_denorm_mode_32 3
		.amdhsa_float_denorm_mode_16_64 3
		.amdhsa_dx10_clamp 1
		.amdhsa_ieee_mode 1
		.amdhsa_fp16_overflow 0
		.amdhsa_workgroup_processor_mode 1
		.amdhsa_memory_ordered 1
		.amdhsa_forward_progress 0
		.amdhsa_shared_vgpr_count 0
		.amdhsa_exception_fp_ieee_invalid_op 0
		.amdhsa_exception_fp_denorm_src 0
		.amdhsa_exception_fp_ieee_div_zero 0
		.amdhsa_exception_fp_ieee_overflow 0
		.amdhsa_exception_fp_ieee_underflow 0
		.amdhsa_exception_fp_ieee_inexact 0
		.amdhsa_exception_int_div_zero 0
	.end_amdhsa_kernel
	.section	.text._Z6kernelI18scatter_to_stripediLj256ELj3ELj100EEvPKT0_PKjPS1_,"axG",@progbits,_Z6kernelI18scatter_to_stripediLj256ELj3ELj100EEvPKT0_PKjPS1_,comdat
.Lfunc_end152:
	.size	_Z6kernelI18scatter_to_stripediLj256ELj3ELj100EEvPKT0_PKjPS1_, .Lfunc_end152-_Z6kernelI18scatter_to_stripediLj256ELj3ELj100EEvPKT0_PKjPS1_
                                        ; -- End function
	.section	.AMDGPU.csdata,"",@progbits
; Kernel info:
; codeLenInByte = 284
; NumSgprs: 16
; NumVgprs: 8
; ScratchSize: 0
; MemoryBound: 0
; FloatMode: 240
; IeeeMode: 1
; LDSByteSize: 3072 bytes/workgroup (compile time only)
; SGPRBlocks: 1
; VGPRBlocks: 0
; NumSGPRsForWavesPerEU: 16
; NumVGPRsForWavesPerEU: 8
; Occupancy: 16
; WaveLimiterHint : 1
; COMPUTE_PGM_RSRC2:SCRATCH_EN: 0
; COMPUTE_PGM_RSRC2:USER_SGPR: 15
; COMPUTE_PGM_RSRC2:TRAP_HANDLER: 0
; COMPUTE_PGM_RSRC2:TGID_X_EN: 1
; COMPUTE_PGM_RSRC2:TGID_Y_EN: 0
; COMPUTE_PGM_RSRC2:TGID_Z_EN: 0
; COMPUTE_PGM_RSRC2:TIDIG_COMP_CNT: 0
	.section	.text._Z6kernelI18scatter_to_stripediLj256ELj4ELj100EEvPKT0_PKjPS1_,"axG",@progbits,_Z6kernelI18scatter_to_stripediLj256ELj4ELj100EEvPKT0_PKjPS1_,comdat
	.protected	_Z6kernelI18scatter_to_stripediLj256ELj4ELj100EEvPKT0_PKjPS1_ ; -- Begin function _Z6kernelI18scatter_to_stripediLj256ELj4ELj100EEvPKT0_PKjPS1_
	.globl	_Z6kernelI18scatter_to_stripediLj256ELj4ELj100EEvPKT0_PKjPS1_
	.p2align	8
	.type	_Z6kernelI18scatter_to_stripediLj256ELj4ELj100EEvPKT0_PKjPS1_,@function
_Z6kernelI18scatter_to_stripediLj256ELj4ELj100EEvPKT0_PKjPS1_: ; @_Z6kernelI18scatter_to_stripediLj256ELj4ELj100EEvPKT0_PKjPS1_
; %bb.0:
	s_load_b128 s[4:7], s[0:1], 0x0
	s_mov_b32 s3, 0
	s_lshl_b32 s2, s15, 10
	v_lshlrev_b32_e32 v5, 2, v0
	s_lshl_b64 s[2:3], s[2:3], 2
	s_load_b64 s[0:1], s[0:1], 0x10
	s_waitcnt lgkmcnt(0)
	s_add_u32 s4, s4, s2
	s_addc_u32 s5, s5, s3
	s_add_u32 s6, s6, s2
	s_addc_u32 s7, s7, s3
	s_clause 0x7
	global_load_b32 v6, v5, s[6:7]
	global_load_b32 v7, v5, s[6:7] offset:1024
	global_load_b32 v8, v5, s[6:7] offset:2048
	;; [unrolled: 1-line block ×3, first 2 shown]
	global_load_b32 v1, v5, s[4:5]
	global_load_b32 v2, v5, s[4:5] offset:1024
	global_load_b32 v3, v5, s[4:5] offset:2048
	;; [unrolled: 1-line block ×3, first 2 shown]
	s_movk_i32 s4, 0x64
	s_waitcnt vmcnt(7)
	v_lshlrev_b32_e32 v6, 2, v6
	s_waitcnt vmcnt(6)
	v_lshlrev_b32_e32 v7, 2, v7
	;; [unrolled: 2-line block ×4, first 2 shown]
	.p2align	6
.LBB153_1:                              ; =>This Inner Loop Header: Depth=1
	s_waitcnt vmcnt(3)
	ds_store_b32 v6, v1
	s_waitcnt vmcnt(2)
	ds_store_b32 v7, v2
	;; [unrolled: 2-line block ×4, first 2 shown]
	s_waitcnt lgkmcnt(0)
	s_barrier
	buffer_gl0_inv
	ds_load_2addr_stride64_b32 v[1:2], v5 offset1:4
	ds_load_2addr_stride64_b32 v[3:4], v5 offset0:8 offset1:12
	s_add_i32 s4, s4, -1
	s_waitcnt lgkmcnt(0)
	s_cmp_lg_u32 s4, 0
	s_barrier
	buffer_gl0_inv
	s_cbranch_scc1 .LBB153_1
; %bb.2:
	v_lshlrev_b32_e32 v0, 2, v0
	s_add_u32 s0, s0, s2
	s_addc_u32 s1, s1, s3
	s_clause 0x3
	global_store_b32 v0, v1, s[0:1]
	global_store_b32 v0, v2, s[0:1] offset:1024
	global_store_b32 v0, v3, s[0:1] offset:2048
	;; [unrolled: 1-line block ×3, first 2 shown]
	s_nop 0
	s_sendmsg sendmsg(MSG_DEALLOC_VGPRS)
	s_endpgm
	.section	.rodata,"a",@progbits
	.p2align	6, 0x0
	.amdhsa_kernel _Z6kernelI18scatter_to_stripediLj256ELj4ELj100EEvPKT0_PKjPS1_
		.amdhsa_group_segment_fixed_size 4224
		.amdhsa_private_segment_fixed_size 0
		.amdhsa_kernarg_size 24
		.amdhsa_user_sgpr_count 15
		.amdhsa_user_sgpr_dispatch_ptr 0
		.amdhsa_user_sgpr_queue_ptr 0
		.amdhsa_user_sgpr_kernarg_segment_ptr 1
		.amdhsa_user_sgpr_dispatch_id 0
		.amdhsa_user_sgpr_private_segment_size 0
		.amdhsa_wavefront_size32 1
		.amdhsa_uses_dynamic_stack 0
		.amdhsa_enable_private_segment 0
		.amdhsa_system_sgpr_workgroup_id_x 1
		.amdhsa_system_sgpr_workgroup_id_y 0
		.amdhsa_system_sgpr_workgroup_id_z 0
		.amdhsa_system_sgpr_workgroup_info 0
		.amdhsa_system_vgpr_workitem_id 0
		.amdhsa_next_free_vgpr 10
		.amdhsa_next_free_sgpr 16
		.amdhsa_reserve_vcc 0
		.amdhsa_float_round_mode_32 0
		.amdhsa_float_round_mode_16_64 0
		.amdhsa_float_denorm_mode_32 3
		.amdhsa_float_denorm_mode_16_64 3
		.amdhsa_dx10_clamp 1
		.amdhsa_ieee_mode 1
		.amdhsa_fp16_overflow 0
		.amdhsa_workgroup_processor_mode 1
		.amdhsa_memory_ordered 1
		.amdhsa_forward_progress 0
		.amdhsa_shared_vgpr_count 0
		.amdhsa_exception_fp_ieee_invalid_op 0
		.amdhsa_exception_fp_denorm_src 0
		.amdhsa_exception_fp_ieee_div_zero 0
		.amdhsa_exception_fp_ieee_overflow 0
		.amdhsa_exception_fp_ieee_underflow 0
		.amdhsa_exception_fp_ieee_inexact 0
		.amdhsa_exception_int_div_zero 0
	.end_amdhsa_kernel
	.section	.text._Z6kernelI18scatter_to_stripediLj256ELj4ELj100EEvPKT0_PKjPS1_,"axG",@progbits,_Z6kernelI18scatter_to_stripediLj256ELj4ELj100EEvPKT0_PKjPS1_,comdat
.Lfunc_end153:
	.size	_Z6kernelI18scatter_to_stripediLj256ELj4ELj100EEvPKT0_PKjPS1_, .Lfunc_end153-_Z6kernelI18scatter_to_stripediLj256ELj4ELj100EEvPKT0_PKjPS1_
                                        ; -- End function
	.section	.AMDGPU.csdata,"",@progbits
; Kernel info:
; codeLenInByte = 324
; NumSgprs: 16
; NumVgprs: 10
; ScratchSize: 0
; MemoryBound: 0
; FloatMode: 240
; IeeeMode: 1
; LDSByteSize: 4224 bytes/workgroup (compile time only)
; SGPRBlocks: 1
; VGPRBlocks: 1
; NumSGPRsForWavesPerEU: 16
; NumVGPRsForWavesPerEU: 10
; Occupancy: 16
; WaveLimiterHint : 1
; COMPUTE_PGM_RSRC2:SCRATCH_EN: 0
; COMPUTE_PGM_RSRC2:USER_SGPR: 15
; COMPUTE_PGM_RSRC2:TRAP_HANDLER: 0
; COMPUTE_PGM_RSRC2:TGID_X_EN: 1
; COMPUTE_PGM_RSRC2:TGID_Y_EN: 0
; COMPUTE_PGM_RSRC2:TGID_Z_EN: 0
; COMPUTE_PGM_RSRC2:TIDIG_COMP_CNT: 0
	.section	.text._Z6kernelI18scatter_to_stripediLj256ELj7ELj100EEvPKT0_PKjPS1_,"axG",@progbits,_Z6kernelI18scatter_to_stripediLj256ELj7ELj100EEvPKT0_PKjPS1_,comdat
	.protected	_Z6kernelI18scatter_to_stripediLj256ELj7ELj100EEvPKT0_PKjPS1_ ; -- Begin function _Z6kernelI18scatter_to_stripediLj256ELj7ELj100EEvPKT0_PKjPS1_
	.globl	_Z6kernelI18scatter_to_stripediLj256ELj7ELj100EEvPKT0_PKjPS1_
	.p2align	8
	.type	_Z6kernelI18scatter_to_stripediLj256ELj7ELj100EEvPKT0_PKjPS1_,@function
_Z6kernelI18scatter_to_stripediLj256ELj7ELj100EEvPKT0_PKjPS1_: ; @_Z6kernelI18scatter_to_stripediLj256ELj7ELj100EEvPKT0_PKjPS1_
; %bb.0:
	s_load_b128 s[4:7], s[0:1], 0x0
	s_mov_b32 s3, 0
	s_mul_i32 s2, s15, 0x700
	v_lshlrev_b32_e32 v7, 2, v0
	s_lshl_b64 s[2:3], s[2:3], 2
	s_load_b64 s[0:1], s[0:1], 0x10
	s_waitcnt lgkmcnt(0)
	s_add_u32 s4, s4, s2
	s_addc_u32 s5, s5, s3
	s_add_u32 s6, s6, s2
	v_add_co_u32 v3, s8, s4, v7
	s_delay_alu instid0(VALU_DEP_1) | instskip(SKIP_2) | instid1(VALU_DEP_1)
	v_add_co_ci_u32_e64 v4, null, s5, 0, s8
	s_addc_u32 s7, s7, s3
	v_add_co_u32 v1, s8, s6, v7
	v_add_co_ci_u32_e64 v2, null, s7, 0, s8
	s_clause 0x3
	global_load_b32 v10, v7, s[6:7]
	global_load_b32 v11, v7, s[6:7] offset:1024
	global_load_b32 v12, v7, s[6:7] offset:2048
	;; [unrolled: 1-line block ×3, first 2 shown]
	v_add_co_u32 v1, vcc_lo, 0x1000, v1
	v_add_co_ci_u32_e32 v2, vcc_lo, 0, v2, vcc_lo
	v_add_co_u32 v8, vcc_lo, 0x1000, v3
	v_add_co_ci_u32_e32 v9, vcc_lo, 0, v4, vcc_lo
	s_clause 0x2
	global_load_b32 v14, v[1:2], off
	global_load_b32 v15, v[1:2], off offset:1024
	global_load_b32 v16, v[1:2], off offset:2048
	s_clause 0x6
	global_load_b32 v1, v7, s[4:5]
	global_load_b32 v2, v7, s[4:5] offset:1024
	global_load_b32 v5, v7, s[4:5] offset:2048
	;; [unrolled: 1-line block ×3, first 2 shown]
	global_load_b32 v3, v[8:9], off
	global_load_b32 v4, v[8:9], off offset:1024
	global_load_b32 v8, v[8:9], off offset:2048
	s_movk_i32 s4, 0x64
	s_waitcnt vmcnt(13)
	v_lshlrev_b32_e32 v9, 2, v10
	s_waitcnt vmcnt(12)
	v_lshlrev_b32_e32 v10, 2, v11
	;; [unrolled: 2-line block ×7, first 2 shown]
	.p2align	6
.LBB154_1:                              ; =>This Inner Loop Header: Depth=1
	s_waitcnt vmcnt(6)
	ds_store_b32 v9, v1
	s_waitcnt vmcnt(5)
	ds_store_b32 v10, v2
	;; [unrolled: 2-line block ×7, first 2 shown]
	s_waitcnt lgkmcnt(0)
	s_barrier
	buffer_gl0_inv
	ds_load_2addr_stride64_b32 v[1:2], v7 offset1:4
	ds_load_2addr_stride64_b32 v[5:6], v7 offset0:8 offset1:12
	ds_load_2addr_stride64_b32 v[3:4], v7 offset0:16 offset1:20
	ds_load_b32 v8, v7 offset:6144
	s_add_i32 s4, s4, -1
	s_waitcnt lgkmcnt(0)
	s_cmp_lg_u32 s4, 0
	s_barrier
	buffer_gl0_inv
	s_cbranch_scc1 .LBB154_1
; %bb.2:
	v_lshlrev_b32_e32 v0, 2, v0
	s_add_u32 s0, s0, s2
	s_addc_u32 s1, s1, s3
	s_delay_alu instid0(VALU_DEP_1) | instskip(NEXT) | instid1(VALU_DEP_1)
	v_add_co_u32 v7, s2, s0, v0
	v_add_co_ci_u32_e64 v10, null, s1, 0, s2
	s_delay_alu instid0(VALU_DEP_2) | instskip(NEXT) | instid1(VALU_DEP_2)
	v_add_co_u32 v9, vcc_lo, 0x1000, v7
	v_add_co_ci_u32_e32 v10, vcc_lo, 0, v10, vcc_lo
	s_clause 0x6
	global_store_b32 v0, v1, s[0:1]
	global_store_b32 v0, v2, s[0:1] offset:1024
	global_store_b32 v0, v5, s[0:1] offset:2048
	;; [unrolled: 1-line block ×3, first 2 shown]
	global_store_b32 v[9:10], v3, off
	global_store_b32 v[9:10], v4, off offset:1024
	global_store_b32 v[9:10], v8, off offset:2048
	s_nop 0
	s_sendmsg sendmsg(MSG_DEALLOC_VGPRS)
	s_endpgm
	.section	.rodata,"a",@progbits
	.p2align	6, 0x0
	.amdhsa_kernel _Z6kernelI18scatter_to_stripediLj256ELj7ELj100EEvPKT0_PKjPS1_
		.amdhsa_group_segment_fixed_size 7168
		.amdhsa_private_segment_fixed_size 0
		.amdhsa_kernarg_size 24
		.amdhsa_user_sgpr_count 15
		.amdhsa_user_sgpr_dispatch_ptr 0
		.amdhsa_user_sgpr_queue_ptr 0
		.amdhsa_user_sgpr_kernarg_segment_ptr 1
		.amdhsa_user_sgpr_dispatch_id 0
		.amdhsa_user_sgpr_private_segment_size 0
		.amdhsa_wavefront_size32 1
		.amdhsa_uses_dynamic_stack 0
		.amdhsa_enable_private_segment 0
		.amdhsa_system_sgpr_workgroup_id_x 1
		.amdhsa_system_sgpr_workgroup_id_y 0
		.amdhsa_system_sgpr_workgroup_id_z 0
		.amdhsa_system_sgpr_workgroup_info 0
		.amdhsa_system_vgpr_workitem_id 0
		.amdhsa_next_free_vgpr 17
		.amdhsa_next_free_sgpr 16
		.amdhsa_reserve_vcc 1
		.amdhsa_float_round_mode_32 0
		.amdhsa_float_round_mode_16_64 0
		.amdhsa_float_denorm_mode_32 3
		.amdhsa_float_denorm_mode_16_64 3
		.amdhsa_dx10_clamp 1
		.amdhsa_ieee_mode 1
		.amdhsa_fp16_overflow 0
		.amdhsa_workgroup_processor_mode 1
		.amdhsa_memory_ordered 1
		.amdhsa_forward_progress 0
		.amdhsa_shared_vgpr_count 0
		.amdhsa_exception_fp_ieee_invalid_op 0
		.amdhsa_exception_fp_denorm_src 0
		.amdhsa_exception_fp_ieee_div_zero 0
		.amdhsa_exception_fp_ieee_overflow 0
		.amdhsa_exception_fp_ieee_underflow 0
		.amdhsa_exception_fp_ieee_inexact 0
		.amdhsa_exception_int_div_zero 0
	.end_amdhsa_kernel
	.section	.text._Z6kernelI18scatter_to_stripediLj256ELj7ELj100EEvPKT0_PKjPS1_,"axG",@progbits,_Z6kernelI18scatter_to_stripediLj256ELj7ELj100EEvPKT0_PKjPS1_,comdat
.Lfunc_end154:
	.size	_Z6kernelI18scatter_to_stripediLj256ELj7ELj100EEvPKT0_PKjPS1_, .Lfunc_end154-_Z6kernelI18scatter_to_stripediLj256ELj7ELj100EEvPKT0_PKjPS1_
                                        ; -- End function
	.section	.AMDGPU.csdata,"",@progbits
; Kernel info:
; codeLenInByte = 592
; NumSgprs: 18
; NumVgprs: 17
; ScratchSize: 0
; MemoryBound: 0
; FloatMode: 240
; IeeeMode: 1
; LDSByteSize: 7168 bytes/workgroup (compile time only)
; SGPRBlocks: 2
; VGPRBlocks: 2
; NumSGPRsForWavesPerEU: 18
; NumVGPRsForWavesPerEU: 17
; Occupancy: 16
; WaveLimiterHint : 1
; COMPUTE_PGM_RSRC2:SCRATCH_EN: 0
; COMPUTE_PGM_RSRC2:USER_SGPR: 15
; COMPUTE_PGM_RSRC2:TRAP_HANDLER: 0
; COMPUTE_PGM_RSRC2:TGID_X_EN: 1
; COMPUTE_PGM_RSRC2:TGID_Y_EN: 0
; COMPUTE_PGM_RSRC2:TGID_Z_EN: 0
; COMPUTE_PGM_RSRC2:TIDIG_COMP_CNT: 0
	.section	.text._Z6kernelI18scatter_to_stripediLj256ELj8ELj100EEvPKT0_PKjPS1_,"axG",@progbits,_Z6kernelI18scatter_to_stripediLj256ELj8ELj100EEvPKT0_PKjPS1_,comdat
	.protected	_Z6kernelI18scatter_to_stripediLj256ELj8ELj100EEvPKT0_PKjPS1_ ; -- Begin function _Z6kernelI18scatter_to_stripediLj256ELj8ELj100EEvPKT0_PKjPS1_
	.globl	_Z6kernelI18scatter_to_stripediLj256ELj8ELj100EEvPKT0_PKjPS1_
	.p2align	8
	.type	_Z6kernelI18scatter_to_stripediLj256ELj8ELj100EEvPKT0_PKjPS1_,@function
_Z6kernelI18scatter_to_stripediLj256ELj8ELj100EEvPKT0_PKjPS1_: ; @_Z6kernelI18scatter_to_stripediLj256ELj8ELj100EEvPKT0_PKjPS1_
; %bb.0:
	s_load_b128 s[4:7], s[0:1], 0x0
	s_mov_b32 s3, 0
	s_lshl_b32 s2, s15, 11
	v_lshlrev_b32_e32 v9, 2, v0
	s_lshl_b64 s[2:3], s[2:3], 2
	s_load_b64 s[0:1], s[0:1], 0x10
	s_waitcnt lgkmcnt(0)
	s_add_u32 s4, s4, s2
	s_addc_u32 s5, s5, s3
	s_add_u32 s6, s6, s2
	v_add_co_u32 v3, s8, s4, v9
	s_delay_alu instid0(VALU_DEP_1) | instskip(SKIP_2) | instid1(VALU_DEP_1)
	v_add_co_ci_u32_e64 v4, null, s5, 0, s8
	s_addc_u32 s7, s7, s3
	v_add_co_u32 v1, s8, s6, v9
	v_add_co_ci_u32_e64 v2, null, s7, 0, s8
	s_clause 0x3
	global_load_b32 v12, v9, s[6:7]
	global_load_b32 v13, v9, s[6:7] offset:1024
	global_load_b32 v14, v9, s[6:7] offset:2048
	;; [unrolled: 1-line block ×3, first 2 shown]
	v_add_co_u32 v1, vcc_lo, 0x1000, v1
	v_add_co_ci_u32_e32 v2, vcc_lo, 0, v2, vcc_lo
	v_add_co_u32 v10, vcc_lo, 0x1000, v3
	v_add_co_ci_u32_e32 v11, vcc_lo, 0, v4, vcc_lo
	s_clause 0x3
	global_load_b32 v16, v[1:2], off
	global_load_b32 v17, v[1:2], off offset:1024
	global_load_b32 v18, v[1:2], off offset:2048
	;; [unrolled: 1-line block ×3, first 2 shown]
	s_clause 0x7
	global_load_b32 v1, v9, s[4:5]
	global_load_b32 v2, v9, s[4:5] offset:1024
	global_load_b32 v7, v9, s[4:5] offset:2048
	;; [unrolled: 1-line block ×3, first 2 shown]
	global_load_b32 v3, v[10:11], off
	global_load_b32 v4, v[10:11], off offset:1024
	global_load_b32 v5, v[10:11], off offset:2048
	;; [unrolled: 1-line block ×3, first 2 shown]
	s_movk_i32 s4, 0x64
	s_waitcnt vmcnt(15)
	v_lshlrev_b32_e32 v10, 2, v12
	s_waitcnt vmcnt(14)
	v_lshlrev_b32_e32 v11, 2, v13
	;; [unrolled: 2-line block ×8, first 2 shown]
	.p2align	6
.LBB155_1:                              ; =>This Inner Loop Header: Depth=1
	s_waitcnt vmcnt(7)
	ds_store_b32 v10, v1
	s_waitcnt vmcnt(6)
	ds_store_b32 v11, v2
	s_waitcnt vmcnt(5)
	ds_store_b32 v12, v7
	s_waitcnt vmcnt(4)
	ds_store_b32 v13, v8
	s_waitcnt vmcnt(3)
	ds_store_b32 v14, v3
	s_waitcnt vmcnt(2)
	ds_store_b32 v15, v4
	s_waitcnt vmcnt(1)
	ds_store_b32 v16, v5
	s_waitcnt vmcnt(0)
	ds_store_b32 v17, v6
	s_waitcnt lgkmcnt(0)
	s_barrier
	buffer_gl0_inv
	ds_load_2addr_stride64_b32 v[1:2], v9 offset1:4
	ds_load_2addr_stride64_b32 v[7:8], v9 offset0:8 offset1:12
	ds_load_2addr_stride64_b32 v[3:4], v9 offset0:16 offset1:20
	ds_load_2addr_stride64_b32 v[5:6], v9 offset0:24 offset1:28
	s_add_i32 s4, s4, -1
	s_waitcnt lgkmcnt(0)
	s_cmp_lg_u32 s4, 0
	s_barrier
	buffer_gl0_inv
	s_cbranch_scc1 .LBB155_1
; %bb.2:
	v_lshlrev_b32_e32 v0, 2, v0
	s_add_u32 s0, s0, s2
	s_addc_u32 s1, s1, s3
	s_delay_alu instid0(VALU_DEP_1) | instskip(NEXT) | instid1(VALU_DEP_1)
	v_add_co_u32 v9, s2, s0, v0
	v_add_co_ci_u32_e64 v10, null, s1, 0, s2
	s_delay_alu instid0(VALU_DEP_2) | instskip(NEXT) | instid1(VALU_DEP_2)
	v_add_co_u32 v9, vcc_lo, 0x1000, v9
	v_add_co_ci_u32_e32 v10, vcc_lo, 0, v10, vcc_lo
	s_clause 0x7
	global_store_b32 v0, v1, s[0:1]
	global_store_b32 v0, v2, s[0:1] offset:1024
	global_store_b32 v0, v7, s[0:1] offset:2048
	;; [unrolled: 1-line block ×3, first 2 shown]
	global_store_b32 v[9:10], v3, off
	global_store_b32 v[9:10], v4, off offset:1024
	global_store_b32 v[9:10], v5, off offset:2048
	;; [unrolled: 1-line block ×3, first 2 shown]
	s_nop 0
	s_sendmsg sendmsg(MSG_DEALLOC_VGPRS)
	s_endpgm
	.section	.rodata,"a",@progbits
	.p2align	6, 0x0
	.amdhsa_kernel _Z6kernelI18scatter_to_stripediLj256ELj8ELj100EEvPKT0_PKjPS1_
		.amdhsa_group_segment_fixed_size 8448
		.amdhsa_private_segment_fixed_size 0
		.amdhsa_kernarg_size 24
		.amdhsa_user_sgpr_count 15
		.amdhsa_user_sgpr_dispatch_ptr 0
		.amdhsa_user_sgpr_queue_ptr 0
		.amdhsa_user_sgpr_kernarg_segment_ptr 1
		.amdhsa_user_sgpr_dispatch_id 0
		.amdhsa_user_sgpr_private_segment_size 0
		.amdhsa_wavefront_size32 1
		.amdhsa_uses_dynamic_stack 0
		.amdhsa_enable_private_segment 0
		.amdhsa_system_sgpr_workgroup_id_x 1
		.amdhsa_system_sgpr_workgroup_id_y 0
		.amdhsa_system_sgpr_workgroup_id_z 0
		.amdhsa_system_sgpr_workgroup_info 0
		.amdhsa_system_vgpr_workitem_id 0
		.amdhsa_next_free_vgpr 20
		.amdhsa_next_free_sgpr 16
		.amdhsa_reserve_vcc 1
		.amdhsa_float_round_mode_32 0
		.amdhsa_float_round_mode_16_64 0
		.amdhsa_float_denorm_mode_32 3
		.amdhsa_float_denorm_mode_16_64 3
		.amdhsa_dx10_clamp 1
		.amdhsa_ieee_mode 1
		.amdhsa_fp16_overflow 0
		.amdhsa_workgroup_processor_mode 1
		.amdhsa_memory_ordered 1
		.amdhsa_forward_progress 0
		.amdhsa_shared_vgpr_count 0
		.amdhsa_exception_fp_ieee_invalid_op 0
		.amdhsa_exception_fp_denorm_src 0
		.amdhsa_exception_fp_ieee_div_zero 0
		.amdhsa_exception_fp_ieee_overflow 0
		.amdhsa_exception_fp_ieee_underflow 0
		.amdhsa_exception_fp_ieee_inexact 0
		.amdhsa_exception_int_div_zero 0
	.end_amdhsa_kernel
	.section	.text._Z6kernelI18scatter_to_stripediLj256ELj8ELj100EEvPKT0_PKjPS1_,"axG",@progbits,_Z6kernelI18scatter_to_stripediLj256ELj8ELj100EEvPKT0_PKjPS1_,comdat
.Lfunc_end155:
	.size	_Z6kernelI18scatter_to_stripediLj256ELj8ELj100EEvPKT0_PKjPS1_, .Lfunc_end155-_Z6kernelI18scatter_to_stripediLj256ELj8ELj100EEvPKT0_PKjPS1_
                                        ; -- End function
	.section	.AMDGPU.csdata,"",@progbits
; Kernel info:
; codeLenInByte = 632
; NumSgprs: 18
; NumVgprs: 20
; ScratchSize: 0
; MemoryBound: 0
; FloatMode: 240
; IeeeMode: 1
; LDSByteSize: 8448 bytes/workgroup (compile time only)
; SGPRBlocks: 2
; VGPRBlocks: 2
; NumSGPRsForWavesPerEU: 18
; NumVGPRsForWavesPerEU: 20
; Occupancy: 16
; WaveLimiterHint : 1
; COMPUTE_PGM_RSRC2:SCRATCH_EN: 0
; COMPUTE_PGM_RSRC2:USER_SGPR: 15
; COMPUTE_PGM_RSRC2:TRAP_HANDLER: 0
; COMPUTE_PGM_RSRC2:TGID_X_EN: 1
; COMPUTE_PGM_RSRC2:TGID_Y_EN: 0
; COMPUTE_PGM_RSRC2:TGID_Z_EN: 0
; COMPUTE_PGM_RSRC2:TIDIG_COMP_CNT: 0
	.section	.text._Z6kernelI18scatter_to_stripedaLj256ELj1ELj100EEvPKT0_PKjPS1_,"axG",@progbits,_Z6kernelI18scatter_to_stripedaLj256ELj1ELj100EEvPKT0_PKjPS1_,comdat
	.protected	_Z6kernelI18scatter_to_stripedaLj256ELj1ELj100EEvPKT0_PKjPS1_ ; -- Begin function _Z6kernelI18scatter_to_stripedaLj256ELj1ELj100EEvPKT0_PKjPS1_
	.globl	_Z6kernelI18scatter_to_stripedaLj256ELj1ELj100EEvPKT0_PKjPS1_
	.p2align	8
	.type	_Z6kernelI18scatter_to_stripedaLj256ELj1ELj100EEvPKT0_PKjPS1_,@function
_Z6kernelI18scatter_to_stripedaLj256ELj1ELj100EEvPKT0_PKjPS1_: ; @_Z6kernelI18scatter_to_stripedaLj256ELj1ELj100EEvPKT0_PKjPS1_
; %bb.0:
	s_load_b128 s[4:7], s[0:1], 0x0
	s_lshl_b32 s2, s15, 8
	s_mov_b32 s3, 0
	v_lshlrev_b32_e32 v2, 2, v0
	s_load_b64 s[0:1], s[0:1], 0x10
	s_waitcnt lgkmcnt(0)
	s_add_u32 s4, s4, s2
	s_addc_u32 s5, s5, 0
	s_lshl_b64 s[8:9], s[2:3], 2
	s_movk_i32 s3, 0x64
	s_add_u32 s6, s6, s8
	s_addc_u32 s7, s7, s9
	global_load_u8 v1, v0, s[4:5]
	global_load_b32 v2, v2, s[6:7]
.LBB156_1:                              ; =>This Inner Loop Header: Depth=1
	s_waitcnt vmcnt(0)
	ds_store_b8 v2, v1
	s_waitcnt lgkmcnt(0)
	s_barrier
	buffer_gl0_inv
	ds_load_u8 v1, v0
	s_add_i32 s3, s3, -1
	s_waitcnt lgkmcnt(0)
	s_cmp_lg_u32 s3, 0
	s_barrier
	buffer_gl0_inv
	s_cbranch_scc1 .LBB156_1
; %bb.2:
	s_add_u32 s0, s0, s2
	s_addc_u32 s1, s1, 0
	v_add_co_u32 v2, s0, s0, v0
	s_delay_alu instid0(VALU_DEP_1)
	v_add_co_ci_u32_e64 v3, null, s1, 0, s0
	global_store_b8 v[2:3], v1, off
	s_nop 0
	s_sendmsg sendmsg(MSG_DEALLOC_VGPRS)
	s_endpgm
	.section	.rodata,"a",@progbits
	.p2align	6, 0x0
	.amdhsa_kernel _Z6kernelI18scatter_to_stripedaLj256ELj1ELj100EEvPKT0_PKjPS1_
		.amdhsa_group_segment_fixed_size 256
		.amdhsa_private_segment_fixed_size 0
		.amdhsa_kernarg_size 24
		.amdhsa_user_sgpr_count 15
		.amdhsa_user_sgpr_dispatch_ptr 0
		.amdhsa_user_sgpr_queue_ptr 0
		.amdhsa_user_sgpr_kernarg_segment_ptr 1
		.amdhsa_user_sgpr_dispatch_id 0
		.amdhsa_user_sgpr_private_segment_size 0
		.amdhsa_wavefront_size32 1
		.amdhsa_uses_dynamic_stack 0
		.amdhsa_enable_private_segment 0
		.amdhsa_system_sgpr_workgroup_id_x 1
		.amdhsa_system_sgpr_workgroup_id_y 0
		.amdhsa_system_sgpr_workgroup_id_z 0
		.amdhsa_system_sgpr_workgroup_info 0
		.amdhsa_system_vgpr_workitem_id 0
		.amdhsa_next_free_vgpr 4
		.amdhsa_next_free_sgpr 16
		.amdhsa_reserve_vcc 0
		.amdhsa_float_round_mode_32 0
		.amdhsa_float_round_mode_16_64 0
		.amdhsa_float_denorm_mode_32 3
		.amdhsa_float_denorm_mode_16_64 3
		.amdhsa_dx10_clamp 1
		.amdhsa_ieee_mode 1
		.amdhsa_fp16_overflow 0
		.amdhsa_workgroup_processor_mode 1
		.amdhsa_memory_ordered 1
		.amdhsa_forward_progress 0
		.amdhsa_shared_vgpr_count 0
		.amdhsa_exception_fp_ieee_invalid_op 0
		.amdhsa_exception_fp_denorm_src 0
		.amdhsa_exception_fp_ieee_div_zero 0
		.amdhsa_exception_fp_ieee_overflow 0
		.amdhsa_exception_fp_ieee_underflow 0
		.amdhsa_exception_fp_ieee_inexact 0
		.amdhsa_exception_int_div_zero 0
	.end_amdhsa_kernel
	.section	.text._Z6kernelI18scatter_to_stripedaLj256ELj1ELj100EEvPKT0_PKjPS1_,"axG",@progbits,_Z6kernelI18scatter_to_stripedaLj256ELj1ELj100EEvPKT0_PKjPS1_,comdat
.Lfunc_end156:
	.size	_Z6kernelI18scatter_to_stripedaLj256ELj1ELj100EEvPKT0_PKjPS1_, .Lfunc_end156-_Z6kernelI18scatter_to_stripedaLj256ELj1ELj100EEvPKT0_PKjPS1_
                                        ; -- End function
	.section	.AMDGPU.csdata,"",@progbits
; Kernel info:
; codeLenInByte = 184
; NumSgprs: 16
; NumVgprs: 4
; ScratchSize: 0
; MemoryBound: 0
; FloatMode: 240
; IeeeMode: 1
; LDSByteSize: 256 bytes/workgroup (compile time only)
; SGPRBlocks: 1
; VGPRBlocks: 0
; NumSGPRsForWavesPerEU: 16
; NumVGPRsForWavesPerEU: 4
; Occupancy: 16
; WaveLimiterHint : 0
; COMPUTE_PGM_RSRC2:SCRATCH_EN: 0
; COMPUTE_PGM_RSRC2:USER_SGPR: 15
; COMPUTE_PGM_RSRC2:TRAP_HANDLER: 0
; COMPUTE_PGM_RSRC2:TGID_X_EN: 1
; COMPUTE_PGM_RSRC2:TGID_Y_EN: 0
; COMPUTE_PGM_RSRC2:TGID_Z_EN: 0
; COMPUTE_PGM_RSRC2:TIDIG_COMP_CNT: 0
	.section	.text._Z6kernelI18scatter_to_stripedaLj256ELj2ELj100EEvPKT0_PKjPS1_,"axG",@progbits,_Z6kernelI18scatter_to_stripedaLj256ELj2ELj100EEvPKT0_PKjPS1_,comdat
	.protected	_Z6kernelI18scatter_to_stripedaLj256ELj2ELj100EEvPKT0_PKjPS1_ ; -- Begin function _Z6kernelI18scatter_to_stripedaLj256ELj2ELj100EEvPKT0_PKjPS1_
	.globl	_Z6kernelI18scatter_to_stripedaLj256ELj2ELj100EEvPKT0_PKjPS1_
	.p2align	8
	.type	_Z6kernelI18scatter_to_stripedaLj256ELj2ELj100EEvPKT0_PKjPS1_,@function
_Z6kernelI18scatter_to_stripedaLj256ELj2ELj100EEvPKT0_PKjPS1_: ; @_Z6kernelI18scatter_to_stripedaLj256ELj2ELj100EEvPKT0_PKjPS1_
; %bb.0:
	s_load_b128 s[4:7], s[0:1], 0x0
	s_lshl_b32 s2, s15, 9
	s_mov_b32 s3, 0
	v_lshlrev_b32_e32 v2, 2, v0
	s_load_b64 s[0:1], s[0:1], 0x10
	s_waitcnt lgkmcnt(0)
	s_add_u32 s4, s4, s2
	s_addc_u32 s5, s5, 0
	s_clause 0x1
	global_load_u8 v3, v0, s[4:5] offset:256
	global_load_u8 v4, v0, s[4:5]
	s_lshl_b64 s[4:5], s[2:3], 2
	s_movk_i32 s3, 0x64
	s_add_u32 s4, s6, s4
	s_addc_u32 s5, s7, s5
	s_clause 0x1
	global_load_b32 v1, v2, s[4:5]
	global_load_b32 v2, v2, s[4:5] offset:1024
	s_waitcnt vmcnt(3)
	v_lshlrev_b16 v3, 8, v3
	s_waitcnt vmcnt(2)
	s_delay_alu instid0(VALU_DEP_1) | instskip(NEXT) | instid1(VALU_DEP_1)
	v_or_b32_e32 v3, v4, v3
	v_and_b32_e32 v5, 0xffff, v3
	.p2align	6
.LBB157_1:                              ; =>This Inner Loop Header: Depth=1
	s_delay_alu instid0(VALU_DEP_1)
	v_lshrrev_b16 v3, 8, v5
	s_add_i32 s3, s3, -1
	s_waitcnt vmcnt(1)
	ds_store_b8 v1, v5
	s_waitcnt vmcnt(0)
	ds_store_b8 v2, v3
	s_waitcnt lgkmcnt(0)
	s_barrier
	buffer_gl0_inv
	ds_load_u8 v3, v0 offset:256
	ds_load_u8 v4, v0
	s_cmp_lg_u32 s3, 0
	s_waitcnt lgkmcnt(0)
	s_barrier
	buffer_gl0_inv
	v_lshlrev_b16 v5, 8, v3
	s_delay_alu instid0(VALU_DEP_1) | instskip(NEXT) | instid1(VALU_DEP_1)
	v_or_b32_e32 v5, v4, v5
	v_and_b32_e32 v5, 0xffff, v5
	s_cbranch_scc1 .LBB157_1
; %bb.2:
	s_add_u32 s0, s0, s2
	s_addc_u32 s1, s1, 0
	v_add_co_u32 v0, s0, s0, v0
	s_delay_alu instid0(VALU_DEP_1)
	v_add_co_ci_u32_e64 v1, null, s1, 0, s0
	s_clause 0x1
	global_store_b8 v[0:1], v4, off
	global_store_b8 v[0:1], v3, off offset:256
	s_nop 0
	s_sendmsg sendmsg(MSG_DEALLOC_VGPRS)
	s_endpgm
	.section	.rodata,"a",@progbits
	.p2align	6, 0x0
	.amdhsa_kernel _Z6kernelI18scatter_to_stripedaLj256ELj2ELj100EEvPKT0_PKjPS1_
		.amdhsa_group_segment_fixed_size 528
		.amdhsa_private_segment_fixed_size 0
		.amdhsa_kernarg_size 24
		.amdhsa_user_sgpr_count 15
		.amdhsa_user_sgpr_dispatch_ptr 0
		.amdhsa_user_sgpr_queue_ptr 0
		.amdhsa_user_sgpr_kernarg_segment_ptr 1
		.amdhsa_user_sgpr_dispatch_id 0
		.amdhsa_user_sgpr_private_segment_size 0
		.amdhsa_wavefront_size32 1
		.amdhsa_uses_dynamic_stack 0
		.amdhsa_enable_private_segment 0
		.amdhsa_system_sgpr_workgroup_id_x 1
		.amdhsa_system_sgpr_workgroup_id_y 0
		.amdhsa_system_sgpr_workgroup_id_z 0
		.amdhsa_system_sgpr_workgroup_info 0
		.amdhsa_system_vgpr_workitem_id 0
		.amdhsa_next_free_vgpr 6
		.amdhsa_next_free_sgpr 16
		.amdhsa_reserve_vcc 0
		.amdhsa_float_round_mode_32 0
		.amdhsa_float_round_mode_16_64 0
		.amdhsa_float_denorm_mode_32 3
		.amdhsa_float_denorm_mode_16_64 3
		.amdhsa_dx10_clamp 1
		.amdhsa_ieee_mode 1
		.amdhsa_fp16_overflow 0
		.amdhsa_workgroup_processor_mode 1
		.amdhsa_memory_ordered 1
		.amdhsa_forward_progress 0
		.amdhsa_shared_vgpr_count 0
		.amdhsa_exception_fp_ieee_invalid_op 0
		.amdhsa_exception_fp_denorm_src 0
		.amdhsa_exception_fp_ieee_div_zero 0
		.amdhsa_exception_fp_ieee_overflow 0
		.amdhsa_exception_fp_ieee_underflow 0
		.amdhsa_exception_fp_ieee_inexact 0
		.amdhsa_exception_int_div_zero 0
	.end_amdhsa_kernel
	.section	.text._Z6kernelI18scatter_to_stripedaLj256ELj2ELj100EEvPKT0_PKjPS1_,"axG",@progbits,_Z6kernelI18scatter_to_stripedaLj256ELj2ELj100EEvPKT0_PKjPS1_,comdat
.Lfunc_end157:
	.size	_Z6kernelI18scatter_to_stripedaLj256ELj2ELj100EEvPKT0_PKjPS1_, .Lfunc_end157-_Z6kernelI18scatter_to_stripedaLj256ELj2ELj100EEvPKT0_PKjPS1_
                                        ; -- End function
	.section	.AMDGPU.csdata,"",@progbits
; Kernel info:
; codeLenInByte = 308
; NumSgprs: 16
; NumVgprs: 6
; ScratchSize: 0
; MemoryBound: 0
; FloatMode: 240
; IeeeMode: 1
; LDSByteSize: 528 bytes/workgroup (compile time only)
; SGPRBlocks: 1
; VGPRBlocks: 0
; NumSGPRsForWavesPerEU: 16
; NumVGPRsForWavesPerEU: 6
; Occupancy: 16
; WaveLimiterHint : 1
; COMPUTE_PGM_RSRC2:SCRATCH_EN: 0
; COMPUTE_PGM_RSRC2:USER_SGPR: 15
; COMPUTE_PGM_RSRC2:TRAP_HANDLER: 0
; COMPUTE_PGM_RSRC2:TGID_X_EN: 1
; COMPUTE_PGM_RSRC2:TGID_Y_EN: 0
; COMPUTE_PGM_RSRC2:TGID_Z_EN: 0
; COMPUTE_PGM_RSRC2:TIDIG_COMP_CNT: 0
	.section	.text._Z6kernelI18scatter_to_stripedaLj256ELj3ELj100EEvPKT0_PKjPS1_,"axG",@progbits,_Z6kernelI18scatter_to_stripedaLj256ELj3ELj100EEvPKT0_PKjPS1_,comdat
	.protected	_Z6kernelI18scatter_to_stripedaLj256ELj3ELj100EEvPKT0_PKjPS1_ ; -- Begin function _Z6kernelI18scatter_to_stripedaLj256ELj3ELj100EEvPKT0_PKjPS1_
	.globl	_Z6kernelI18scatter_to_stripedaLj256ELj3ELj100EEvPKT0_PKjPS1_
	.p2align	8
	.type	_Z6kernelI18scatter_to_stripedaLj256ELj3ELj100EEvPKT0_PKjPS1_,@function
_Z6kernelI18scatter_to_stripedaLj256ELj3ELj100EEvPKT0_PKjPS1_: ; @_Z6kernelI18scatter_to_stripedaLj256ELj3ELj100EEvPKT0_PKjPS1_
; %bb.0:
	s_load_b128 s[4:7], s[0:1], 0x0
	s_mul_i32 s2, s15, 0x300
	s_mov_b32 s3, 0
	v_lshlrev_b32_e32 v3, 2, v0
	s_load_b64 s[0:1], s[0:1], 0x10
	s_waitcnt lgkmcnt(0)
	s_add_u32 s4, s4, s2
	s_addc_u32 s5, s5, 0
	s_lshl_b64 s[8:9], s[2:3], 2
	s_clause 0x2
	global_load_u8 v4, v0, s[4:5] offset:256
	global_load_u8 v5, v0, s[4:5]
	global_load_u8 v6, v0, s[4:5] offset:512
	s_add_u32 s4, s6, s8
	s_addc_u32 s5, s7, s9
	s_clause 0x2
	global_load_b32 v1, v3, s[4:5]
	global_load_b32 v2, v3, s[4:5] offset:1024
	global_load_b32 v3, v3, s[4:5] offset:2048
	s_movk_i32 s3, 0x64
	s_waitcnt vmcnt(5)
	v_lshlrev_b16 v4, 8, v4
	s_waitcnt vmcnt(4)
	s_delay_alu instid0(VALU_DEP_1) | instskip(NEXT) | instid1(VALU_DEP_1)
	v_or_b32_e32 v4, v5, v4
	v_and_b32_e32 v4, 0xffff, v4
	s_waitcnt vmcnt(3)
	s_delay_alu instid0(VALU_DEP_1)
	v_lshl_or_b32 v7, v6, 16, v4
	.p2align	6
.LBB158_1:                              ; =>This Inner Loop Header: Depth=1
	s_delay_alu instid0(VALU_DEP_1)
	v_lshrrev_b32_e32 v4, 8, v7
	s_add_i32 s3, s3, -1
	s_waitcnt vmcnt(2)
	ds_store_b8 v1, v7
	s_waitcnt vmcnt(1)
	ds_store_b8 v2, v4
	s_waitcnt vmcnt(0)
	ds_store_b8_d16_hi v3, v7
	s_waitcnt lgkmcnt(0)
	s_barrier
	buffer_gl0_inv
	ds_load_u8 v4, v0 offset:256
	ds_load_u8 v6, v0
	ds_load_u8 v5, v0 offset:512
	s_cmp_lg_u32 s3, 0
	s_waitcnt lgkmcnt(0)
	s_barrier
	buffer_gl0_inv
	v_lshlrev_b16 v7, 8, v4
	v_lshlrev_b32_e32 v8, 16, v5
	s_delay_alu instid0(VALU_DEP_2) | instskip(NEXT) | instid1(VALU_DEP_1)
	v_or_b32_e32 v7, v6, v7
	v_and_b32_e32 v7, 0xffff, v7
	s_delay_alu instid0(VALU_DEP_1)
	v_or_b32_e32 v7, v7, v8
	s_cbranch_scc1 .LBB158_1
; %bb.2:
	s_add_u32 s0, s0, s2
	s_addc_u32 s1, s1, 0
	v_add_co_u32 v0, s0, s0, v0
	s_delay_alu instid0(VALU_DEP_1)
	v_add_co_ci_u32_e64 v1, null, s1, 0, s0
	s_clause 0x2
	global_store_b8 v[0:1], v6, off
	global_store_b8 v[0:1], v4, off offset:256
	global_store_b8 v[0:1], v5, off offset:512
	s_nop 0
	s_sendmsg sendmsg(MSG_DEALLOC_VGPRS)
	s_endpgm
	.section	.rodata,"a",@progbits
	.p2align	6, 0x0
	.amdhsa_kernel _Z6kernelI18scatter_to_stripedaLj256ELj3ELj100EEvPKT0_PKjPS1_
		.amdhsa_group_segment_fixed_size 768
		.amdhsa_private_segment_fixed_size 0
		.amdhsa_kernarg_size 24
		.amdhsa_user_sgpr_count 15
		.amdhsa_user_sgpr_dispatch_ptr 0
		.amdhsa_user_sgpr_queue_ptr 0
		.amdhsa_user_sgpr_kernarg_segment_ptr 1
		.amdhsa_user_sgpr_dispatch_id 0
		.amdhsa_user_sgpr_private_segment_size 0
		.amdhsa_wavefront_size32 1
		.amdhsa_uses_dynamic_stack 0
		.amdhsa_enable_private_segment 0
		.amdhsa_system_sgpr_workgroup_id_x 1
		.amdhsa_system_sgpr_workgroup_id_y 0
		.amdhsa_system_sgpr_workgroup_id_z 0
		.amdhsa_system_sgpr_workgroup_info 0
		.amdhsa_system_vgpr_workitem_id 0
		.amdhsa_next_free_vgpr 9
		.amdhsa_next_free_sgpr 16
		.amdhsa_reserve_vcc 0
		.amdhsa_float_round_mode_32 0
		.amdhsa_float_round_mode_16_64 0
		.amdhsa_float_denorm_mode_32 3
		.amdhsa_float_denorm_mode_16_64 3
		.amdhsa_dx10_clamp 1
		.amdhsa_ieee_mode 1
		.amdhsa_fp16_overflow 0
		.amdhsa_workgroup_processor_mode 1
		.amdhsa_memory_ordered 1
		.amdhsa_forward_progress 0
		.amdhsa_shared_vgpr_count 0
		.amdhsa_exception_fp_ieee_invalid_op 0
		.amdhsa_exception_fp_denorm_src 0
		.amdhsa_exception_fp_ieee_div_zero 0
		.amdhsa_exception_fp_ieee_overflow 0
		.amdhsa_exception_fp_ieee_underflow 0
		.amdhsa_exception_fp_ieee_inexact 0
		.amdhsa_exception_int_div_zero 0
	.end_amdhsa_kernel
	.section	.text._Z6kernelI18scatter_to_stripedaLj256ELj3ELj100EEvPKT0_PKjPS1_,"axG",@progbits,_Z6kernelI18scatter_to_stripedaLj256ELj3ELj100EEvPKT0_PKjPS1_,comdat
.Lfunc_end158:
	.size	_Z6kernelI18scatter_to_stripedaLj256ELj3ELj100EEvPKT0_PKjPS1_, .Lfunc_end158-_Z6kernelI18scatter_to_stripedaLj256ELj3ELj100EEvPKT0_PKjPS1_
                                        ; -- End function
	.section	.AMDGPU.csdata,"",@progbits
; Kernel info:
; codeLenInByte = 380
; NumSgprs: 16
; NumVgprs: 9
; ScratchSize: 0
; MemoryBound: 0
; FloatMode: 240
; IeeeMode: 1
; LDSByteSize: 768 bytes/workgroup (compile time only)
; SGPRBlocks: 1
; VGPRBlocks: 1
; NumSGPRsForWavesPerEU: 16
; NumVGPRsForWavesPerEU: 9
; Occupancy: 16
; WaveLimiterHint : 1
; COMPUTE_PGM_RSRC2:SCRATCH_EN: 0
; COMPUTE_PGM_RSRC2:USER_SGPR: 15
; COMPUTE_PGM_RSRC2:TRAP_HANDLER: 0
; COMPUTE_PGM_RSRC2:TGID_X_EN: 1
; COMPUTE_PGM_RSRC2:TGID_Y_EN: 0
; COMPUTE_PGM_RSRC2:TGID_Z_EN: 0
; COMPUTE_PGM_RSRC2:TIDIG_COMP_CNT: 0
	.section	.text._Z6kernelI18scatter_to_stripedaLj256ELj4ELj100EEvPKT0_PKjPS1_,"axG",@progbits,_Z6kernelI18scatter_to_stripedaLj256ELj4ELj100EEvPKT0_PKjPS1_,comdat
	.protected	_Z6kernelI18scatter_to_stripedaLj256ELj4ELj100EEvPKT0_PKjPS1_ ; -- Begin function _Z6kernelI18scatter_to_stripedaLj256ELj4ELj100EEvPKT0_PKjPS1_
	.globl	_Z6kernelI18scatter_to_stripedaLj256ELj4ELj100EEvPKT0_PKjPS1_
	.p2align	8
	.type	_Z6kernelI18scatter_to_stripedaLj256ELj4ELj100EEvPKT0_PKjPS1_,@function
_Z6kernelI18scatter_to_stripedaLj256ELj4ELj100EEvPKT0_PKjPS1_: ; @_Z6kernelI18scatter_to_stripedaLj256ELj4ELj100EEvPKT0_PKjPS1_
; %bb.0:
	s_load_b128 s[4:7], s[0:1], 0x0
	s_lshl_b32 s2, s15, 10
	s_mov_b32 s3, 0
	v_lshlrev_b32_e32 v4, 2, v0
	s_load_b64 s[0:1], s[0:1], 0x10
	s_waitcnt lgkmcnt(0)
	s_add_u32 s4, s4, s2
	s_addc_u32 s5, s5, 0
	s_clause 0x3
	global_load_u8 v5, v0, s[4:5] offset:256
	global_load_u8 v6, v0, s[4:5] offset:768
	global_load_u8 v7, v0, s[4:5]
	global_load_u8 v8, v0, s[4:5] offset:512
	s_lshl_b64 s[4:5], s[2:3], 2
	s_movk_i32 s3, 0x64
	s_add_u32 s4, s6, s4
	s_addc_u32 s5, s7, s5
	s_clause 0x3
	global_load_b32 v1, v4, s[4:5]
	global_load_b32 v2, v4, s[4:5] offset:1024
	global_load_b32 v3, v4, s[4:5] offset:2048
	;; [unrolled: 1-line block ×3, first 2 shown]
	s_waitcnt vmcnt(7)
	v_lshlrev_b16 v5, 8, v5
	s_waitcnt vmcnt(6)
	v_lshlrev_b16 v6, 8, v6
	s_waitcnt vmcnt(5)
	s_delay_alu instid0(VALU_DEP_2) | instskip(SKIP_1) | instid1(VALU_DEP_2)
	v_or_b32_e32 v5, v7, v5
	s_waitcnt vmcnt(4)
	v_or_b32_e32 v6, v8, v6
	s_delay_alu instid0(VALU_DEP_2) | instskip(NEXT) | instid1(VALU_DEP_2)
	v_and_b32_e32 v5, 0xffff, v5
	v_lshlrev_b32_e32 v6, 16, v6
	s_delay_alu instid0(VALU_DEP_1)
	v_or_b32_e32 v9, v5, v6
	s_set_inst_prefetch_distance 0x1
	.p2align	6
.LBB159_1:                              ; =>This Inner Loop Header: Depth=1
	s_delay_alu instid0(VALU_DEP_1)
	v_lshrrev_b32_e32 v5, 8, v9
	v_lshrrev_b32_e32 v6, 24, v9
	s_add_i32 s3, s3, -1
	s_waitcnt vmcnt(3)
	ds_store_b8 v1, v9
	s_waitcnt vmcnt(2)
	ds_store_b8 v2, v5
	s_waitcnt vmcnt(1)
	ds_store_b8_d16_hi v3, v9
	s_waitcnt vmcnt(0)
	ds_store_b8 v4, v6
	s_waitcnt lgkmcnt(0)
	s_barrier
	buffer_gl0_inv
	ds_load_u8 v5, v0 offset:256
	ds_load_u8 v6, v0 offset:768
	ds_load_u8 v8, v0
	ds_load_u8 v7, v0 offset:512
	s_cmp_lg_u32 s3, 0
	s_waitcnt lgkmcnt(0)
	s_barrier
	buffer_gl0_inv
	v_lshlrev_b16 v9, 8, v5
	v_lshlrev_b16 v10, 8, v6
	s_delay_alu instid0(VALU_DEP_2) | instskip(NEXT) | instid1(VALU_DEP_2)
	v_or_b32_e32 v9, v8, v9
	v_or_b32_e32 v10, v7, v10
	s_delay_alu instid0(VALU_DEP_2) | instskip(NEXT) | instid1(VALU_DEP_2)
	v_and_b32_e32 v9, 0xffff, v9
	v_lshlrev_b32_e32 v10, 16, v10
	s_delay_alu instid0(VALU_DEP_1)
	v_or_b32_e32 v9, v9, v10
	s_cbranch_scc1 .LBB159_1
; %bb.2:
	s_set_inst_prefetch_distance 0x2
	s_add_u32 s0, s0, s2
	s_addc_u32 s1, s1, 0
	v_add_co_u32 v0, s0, s0, v0
	s_delay_alu instid0(VALU_DEP_1)
	v_add_co_ci_u32_e64 v1, null, s1, 0, s0
	s_clause 0x3
	global_store_b8 v[0:1], v8, off
	global_store_b8 v[0:1], v5, off offset:256
	global_store_b8 v[0:1], v7, off offset:512
	;; [unrolled: 1-line block ×3, first 2 shown]
	s_nop 0
	s_sendmsg sendmsg(MSG_DEALLOC_VGPRS)
	s_endpgm
	.section	.rodata,"a",@progbits
	.p2align	6, 0x0
	.amdhsa_kernel _Z6kernelI18scatter_to_stripedaLj256ELj4ELj100EEvPKT0_PKjPS1_
		.amdhsa_group_segment_fixed_size 1056
		.amdhsa_private_segment_fixed_size 0
		.amdhsa_kernarg_size 24
		.amdhsa_user_sgpr_count 15
		.amdhsa_user_sgpr_dispatch_ptr 0
		.amdhsa_user_sgpr_queue_ptr 0
		.amdhsa_user_sgpr_kernarg_segment_ptr 1
		.amdhsa_user_sgpr_dispatch_id 0
		.amdhsa_user_sgpr_private_segment_size 0
		.amdhsa_wavefront_size32 1
		.amdhsa_uses_dynamic_stack 0
		.amdhsa_enable_private_segment 0
		.amdhsa_system_sgpr_workgroup_id_x 1
		.amdhsa_system_sgpr_workgroup_id_y 0
		.amdhsa_system_sgpr_workgroup_id_z 0
		.amdhsa_system_sgpr_workgroup_info 0
		.amdhsa_system_vgpr_workitem_id 0
		.amdhsa_next_free_vgpr 11
		.amdhsa_next_free_sgpr 16
		.amdhsa_reserve_vcc 0
		.amdhsa_float_round_mode_32 0
		.amdhsa_float_round_mode_16_64 0
		.amdhsa_float_denorm_mode_32 3
		.amdhsa_float_denorm_mode_16_64 3
		.amdhsa_dx10_clamp 1
		.amdhsa_ieee_mode 1
		.amdhsa_fp16_overflow 0
		.amdhsa_workgroup_processor_mode 1
		.amdhsa_memory_ordered 1
		.amdhsa_forward_progress 0
		.amdhsa_shared_vgpr_count 0
		.amdhsa_exception_fp_ieee_invalid_op 0
		.amdhsa_exception_fp_denorm_src 0
		.amdhsa_exception_fp_ieee_div_zero 0
		.amdhsa_exception_fp_ieee_overflow 0
		.amdhsa_exception_fp_ieee_underflow 0
		.amdhsa_exception_fp_ieee_inexact 0
		.amdhsa_exception_int_div_zero 0
	.end_amdhsa_kernel
	.section	.text._Z6kernelI18scatter_to_stripedaLj256ELj4ELj100EEvPKT0_PKjPS1_,"axG",@progbits,_Z6kernelI18scatter_to_stripedaLj256ELj4ELj100EEvPKT0_PKjPS1_,comdat
.Lfunc_end159:
	.size	_Z6kernelI18scatter_to_stripedaLj256ELj4ELj100EEvPKT0_PKjPS1_, .Lfunc_end159-_Z6kernelI18scatter_to_stripedaLj256ELj4ELj100EEvPKT0_PKjPS1_
                                        ; -- End function
	.section	.AMDGPU.csdata,"",@progbits
; Kernel info:
; codeLenInByte = 468
; NumSgprs: 16
; NumVgprs: 11
; ScratchSize: 0
; MemoryBound: 0
; FloatMode: 240
; IeeeMode: 1
; LDSByteSize: 1056 bytes/workgroup (compile time only)
; SGPRBlocks: 1
; VGPRBlocks: 1
; NumSGPRsForWavesPerEU: 16
; NumVGPRsForWavesPerEU: 11
; Occupancy: 16
; WaveLimiterHint : 1
; COMPUTE_PGM_RSRC2:SCRATCH_EN: 0
; COMPUTE_PGM_RSRC2:USER_SGPR: 15
; COMPUTE_PGM_RSRC2:TRAP_HANDLER: 0
; COMPUTE_PGM_RSRC2:TGID_X_EN: 1
; COMPUTE_PGM_RSRC2:TGID_Y_EN: 0
; COMPUTE_PGM_RSRC2:TGID_Z_EN: 0
; COMPUTE_PGM_RSRC2:TIDIG_COMP_CNT: 0
	.section	.text._Z6kernelI18scatter_to_stripedaLj256ELj7ELj100EEvPKT0_PKjPS1_,"axG",@progbits,_Z6kernelI18scatter_to_stripedaLj256ELj7ELj100EEvPKT0_PKjPS1_,comdat
	.protected	_Z6kernelI18scatter_to_stripedaLj256ELj7ELj100EEvPKT0_PKjPS1_ ; -- Begin function _Z6kernelI18scatter_to_stripedaLj256ELj7ELj100EEvPKT0_PKjPS1_
	.globl	_Z6kernelI18scatter_to_stripedaLj256ELj7ELj100EEvPKT0_PKjPS1_
	.p2align	8
	.type	_Z6kernelI18scatter_to_stripedaLj256ELj7ELj100EEvPKT0_PKjPS1_,@function
_Z6kernelI18scatter_to_stripedaLj256ELj7ELj100EEvPKT0_PKjPS1_: ; @_Z6kernelI18scatter_to_stripedaLj256ELj7ELj100EEvPKT0_PKjPS1_
; %bb.0:
	s_load_b128 s[4:7], s[0:1], 0x0
	s_mul_i32 s2, s15, 0x700
	s_mov_b32 s3, 0
	v_lshlrev_b32_e32 v7, 2, v0
	s_load_b64 s[0:1], s[0:1], 0x10
	s_waitcnt lgkmcnt(0)
	s_add_u32 s4, s4, s2
	s_addc_u32 s5, s5, 0
	s_lshl_b64 s[8:9], s[2:3], 2
	s_clause 0x3
	global_load_u8 v12, v0, s[4:5]
	global_load_u8 v13, v0, s[4:5] offset:256
	global_load_u8 v14, v0, s[4:5] offset:512
	;; [unrolled: 1-line block ×3, first 2 shown]
	s_add_u32 s6, s6, s8
	s_addc_u32 s7, s7, s9
	v_add_co_u32 v4, s3, s6, v7
	s_delay_alu instid0(VALU_DEP_1)
	v_add_co_ci_u32_e64 v5, null, s7, 0, s3
	s_clause 0x2
	global_load_u8 v2, v0, s[4:5] offset:1024
	global_load_u8 v3, v0, s[4:5] offset:1280
	;; [unrolled: 1-line block ×3, first 2 shown]
	v_add_co_u32 v10, vcc_lo, 0x1000, v4
	v_add_co_ci_u32_e32 v11, vcc_lo, 0, v5, vcc_lo
	s_clause 0x6
	global_load_b32 v4, v7, s[6:7]
	global_load_b32 v5, v7, s[6:7] offset:1024
	global_load_b32 v6, v7, s[6:7] offset:2048
	;; [unrolled: 1-line block ×3, first 2 shown]
	global_load_b32 v8, v[10:11], off
	global_load_b32 v9, v[10:11], off offset:1024
	global_load_b32 v10, v[10:11], off offset:2048
	s_movk_i32 s3, 0x64
	s_waitcnt vmcnt(12)
	v_lshlrev_b16 v11, 8, v13
	s_waitcnt vmcnt(10)
	v_lshlrev_b16 v13, 8, v15
	s_delay_alu instid0(VALU_DEP_2) | instskip(NEXT) | instid1(VALU_DEP_2)
	v_or_b32_e32 v11, v12, v11
	v_or_b32_e32 v12, v14, v13
	s_delay_alu instid0(VALU_DEP_2) | instskip(NEXT) | instid1(VALU_DEP_2)
	v_and_b32_e32 v11, 0xffff, v11
	v_lshlrev_b32_e32 v12, 16, v12
	s_delay_alu instid0(VALU_DEP_1)
	v_or_b32_e32 v15, v11, v12
	s_set_inst_prefetch_distance 0x1
	.p2align	6
.LBB160_1:                              ; =>This Inner Loop Header: Depth=1
	s_delay_alu instid0(VALU_DEP_1)
	v_lshrrev_b32_e32 v11, 8, v15
	v_lshrrev_b32_e32 v12, 24, v15
	s_add_i32 s3, s3, -1
	s_waitcnt vmcnt(6)
	ds_store_b8 v4, v15
	s_waitcnt vmcnt(5)
	ds_store_b8 v5, v11
	s_waitcnt vmcnt(4)
	ds_store_b8_d16_hi v6, v15
	s_waitcnt vmcnt(3)
	ds_store_b8 v7, v12
	s_waitcnt vmcnt(2)
	ds_store_b8 v8, v2
	;; [unrolled: 2-line block ×4, first 2 shown]
	s_waitcnt lgkmcnt(0)
	s_barrier
	buffer_gl0_inv
	ds_load_u8 v11, v0 offset:256
	ds_load_u8 v12, v0 offset:768
	ds_load_u8 v14, v0
	ds_load_u8 v13, v0 offset:512
	ds_load_u8 v2, v0 offset:1024
	;; [unrolled: 1-line block ×4, first 2 shown]
	s_cmp_lg_u32 s3, 0
	s_waitcnt lgkmcnt(0)
	s_barrier
	buffer_gl0_inv
	v_lshlrev_b16 v15, 8, v11
	v_lshlrev_b16 v16, 8, v12
	s_delay_alu instid0(VALU_DEP_2) | instskip(NEXT) | instid1(VALU_DEP_2)
	v_or_b32_e32 v15, v14, v15
	v_or_b32_e32 v16, v13, v16
	s_delay_alu instid0(VALU_DEP_2) | instskip(NEXT) | instid1(VALU_DEP_2)
	v_and_b32_e32 v15, 0xffff, v15
	v_lshlrev_b32_e32 v16, 16, v16
	s_delay_alu instid0(VALU_DEP_1)
	v_or_b32_e32 v15, v15, v16
	s_cbranch_scc1 .LBB160_1
; %bb.2:
	s_set_inst_prefetch_distance 0x2
	s_add_u32 s0, s0, s2
	s_addc_u32 s1, s1, 0
	v_add_co_u32 v4, s0, s0, v0
	s_delay_alu instid0(VALU_DEP_1)
	v_add_co_ci_u32_e64 v5, null, s1, 0, s0
	s_clause 0x6
	global_store_b8 v[4:5], v14, off
	global_store_b8 v[4:5], v11, off offset:256
	global_store_b8 v[4:5], v13, off offset:512
	;; [unrolled: 1-line block ×6, first 2 shown]
	s_nop 0
	s_sendmsg sendmsg(MSG_DEALLOC_VGPRS)
	s_endpgm
	.section	.rodata,"a",@progbits
	.p2align	6, 0x0
	.amdhsa_kernel _Z6kernelI18scatter_to_stripedaLj256ELj7ELj100EEvPKT0_PKjPS1_
		.amdhsa_group_segment_fixed_size 1792
		.amdhsa_private_segment_fixed_size 0
		.amdhsa_kernarg_size 24
		.amdhsa_user_sgpr_count 15
		.amdhsa_user_sgpr_dispatch_ptr 0
		.amdhsa_user_sgpr_queue_ptr 0
		.amdhsa_user_sgpr_kernarg_segment_ptr 1
		.amdhsa_user_sgpr_dispatch_id 0
		.amdhsa_user_sgpr_private_segment_size 0
		.amdhsa_wavefront_size32 1
		.amdhsa_uses_dynamic_stack 0
		.amdhsa_enable_private_segment 0
		.amdhsa_system_sgpr_workgroup_id_x 1
		.amdhsa_system_sgpr_workgroup_id_y 0
		.amdhsa_system_sgpr_workgroup_id_z 0
		.amdhsa_system_sgpr_workgroup_info 0
		.amdhsa_system_vgpr_workitem_id 0
		.amdhsa_next_free_vgpr 17
		.amdhsa_next_free_sgpr 16
		.amdhsa_reserve_vcc 1
		.amdhsa_float_round_mode_32 0
		.amdhsa_float_round_mode_16_64 0
		.amdhsa_float_denorm_mode_32 3
		.amdhsa_float_denorm_mode_16_64 3
		.amdhsa_dx10_clamp 1
		.amdhsa_ieee_mode 1
		.amdhsa_fp16_overflow 0
		.amdhsa_workgroup_processor_mode 1
		.amdhsa_memory_ordered 1
		.amdhsa_forward_progress 0
		.amdhsa_shared_vgpr_count 0
		.amdhsa_exception_fp_ieee_invalid_op 0
		.amdhsa_exception_fp_denorm_src 0
		.amdhsa_exception_fp_ieee_div_zero 0
		.amdhsa_exception_fp_ieee_overflow 0
		.amdhsa_exception_fp_ieee_underflow 0
		.amdhsa_exception_fp_ieee_inexact 0
		.amdhsa_exception_int_div_zero 0
	.end_amdhsa_kernel
	.section	.text._Z6kernelI18scatter_to_stripedaLj256ELj7ELj100EEvPKT0_PKjPS1_,"axG",@progbits,_Z6kernelI18scatter_to_stripedaLj256ELj7ELj100EEvPKT0_PKjPS1_,comdat
.Lfunc_end160:
	.size	_Z6kernelI18scatter_to_stripedaLj256ELj7ELj100EEvPKT0_PKjPS1_, .Lfunc_end160-_Z6kernelI18scatter_to_stripedaLj256ELj7ELj100EEvPKT0_PKjPS1_
                                        ; -- End function
	.section	.AMDGPU.csdata,"",@progbits
; Kernel info:
; codeLenInByte = 636
; NumSgprs: 18
; NumVgprs: 17
; ScratchSize: 0
; MemoryBound: 0
; FloatMode: 240
; IeeeMode: 1
; LDSByteSize: 1792 bytes/workgroup (compile time only)
; SGPRBlocks: 2
; VGPRBlocks: 2
; NumSGPRsForWavesPerEU: 18
; NumVGPRsForWavesPerEU: 17
; Occupancy: 16
; WaveLimiterHint : 1
; COMPUTE_PGM_RSRC2:SCRATCH_EN: 0
; COMPUTE_PGM_RSRC2:USER_SGPR: 15
; COMPUTE_PGM_RSRC2:TRAP_HANDLER: 0
; COMPUTE_PGM_RSRC2:TGID_X_EN: 1
; COMPUTE_PGM_RSRC2:TGID_Y_EN: 0
; COMPUTE_PGM_RSRC2:TGID_Z_EN: 0
; COMPUTE_PGM_RSRC2:TIDIG_COMP_CNT: 0
	.section	.text._Z6kernelI18scatter_to_stripedaLj256ELj8ELj100EEvPKT0_PKjPS1_,"axG",@progbits,_Z6kernelI18scatter_to_stripedaLj256ELj8ELj100EEvPKT0_PKjPS1_,comdat
	.protected	_Z6kernelI18scatter_to_stripedaLj256ELj8ELj100EEvPKT0_PKjPS1_ ; -- Begin function _Z6kernelI18scatter_to_stripedaLj256ELj8ELj100EEvPKT0_PKjPS1_
	.globl	_Z6kernelI18scatter_to_stripedaLj256ELj8ELj100EEvPKT0_PKjPS1_
	.p2align	8
	.type	_Z6kernelI18scatter_to_stripedaLj256ELj8ELj100EEvPKT0_PKjPS1_,@function
_Z6kernelI18scatter_to_stripedaLj256ELj8ELj100EEvPKT0_PKjPS1_: ; @_Z6kernelI18scatter_to_stripedaLj256ELj8ELj100EEvPKT0_PKjPS1_
; %bb.0:
	s_load_b128 s[4:7], s[0:1], 0x0
	s_lshl_b32 s2, s15, 11
	s_mov_b32 s3, 0
	v_lshlrev_b32_e32 v4, 2, v0
	s_load_b64 s[0:1], s[0:1], 0x10
	s_waitcnt lgkmcnt(0)
	s_add_u32 s4, s4, s2
	s_addc_u32 s5, s5, 0
	s_lshl_b64 s[8:9], s[2:3], 2
	s_clause 0x7
	global_load_u8 v10, v0, s[4:5]
	global_load_u8 v11, v0, s[4:5] offset:256
	global_load_u8 v12, v0, s[4:5] offset:512
	;; [unrolled: 1-line block ×7, first 2 shown]
	s_add_u32 s4, s6, s8
	s_addc_u32 s5, s7, s9
	v_add_co_u32 v1, s3, s4, v4
	s_delay_alu instid0(VALU_DEP_1) | instskip(SKIP_1) | instid1(VALU_DEP_2)
	v_add_co_ci_u32_e64 v2, null, s5, 0, s3
	s_movk_i32 s3, 0x64
	v_add_co_u32 v8, vcc_lo, 0x1000, v1
	s_delay_alu instid0(VALU_DEP_2)
	v_add_co_ci_u32_e32 v9, vcc_lo, 0, v2, vcc_lo
	s_clause 0x7
	global_load_b32 v1, v4, s[4:5]
	global_load_b32 v2, v4, s[4:5] offset:1024
	global_load_b32 v3, v4, s[4:5] offset:2048
	;; [unrolled: 1-line block ×3, first 2 shown]
	global_load_b32 v5, v[8:9], off
	global_load_b32 v6, v[8:9], off offset:1024
	global_load_b32 v7, v[8:9], off offset:2048
	;; [unrolled: 1-line block ×3, first 2 shown]
	s_waitcnt vmcnt(14)
	v_lshlrev_b16 v9, 8, v11
	s_waitcnt vmcnt(12)
	v_lshlrev_b16 v11, 8, v13
	;; [unrolled: 2-line block ×4, first 2 shown]
	v_or_b32_e32 v9, v10, v9
	v_or_b32_e32 v10, v12, v11
	;; [unrolled: 1-line block ×3, first 2 shown]
	s_waitcnt vmcnt(8)
	v_or_b32_e32 v12, v17, v15
	v_and_b32_e32 v9, 0xffff, v9
	v_lshlrev_b32_e32 v10, 16, v10
	v_and_b32_e32 v11, 0xffff, v11
	s_delay_alu instid0(VALU_DEP_4) | instskip(NEXT) | instid1(VALU_DEP_3)
	v_lshlrev_b32_e32 v12, 16, v12
	v_or_b32_e32 v18, v9, v10
	s_delay_alu instid0(VALU_DEP_2)
	v_or_b32_e32 v17, v11, v12
.LBB161_1:                              ; =>This Inner Loop Header: Depth=1
	s_delay_alu instid0(VALU_DEP_2) | instskip(SKIP_1) | instid1(VALU_DEP_3)
	v_lshrrev_b32_e32 v9, 8, v18
	v_lshrrev_b32_e32 v10, 24, v18
	;; [unrolled: 1-line block ×3, first 2 shown]
	s_waitcnt vmcnt(7)
	ds_store_b8 v1, v18
	s_add_i32 s3, s3, -1
	s_waitcnt vmcnt(6)
	ds_store_b8 v2, v9
	s_waitcnt vmcnt(5)
	ds_store_b8_d16_hi v3, v18
	v_lshrrev_b32_e32 v9, 24, v17
	s_waitcnt vmcnt(4)
	ds_store_b8 v4, v10
	s_waitcnt vmcnt(3)
	ds_store_b8 v5, v17
	;; [unrolled: 2-line block ×3, first 2 shown]
	s_waitcnt vmcnt(1)
	ds_store_b8_d16_hi v7, v17
	s_waitcnt vmcnt(0)
	ds_store_b8 v8, v9
	s_waitcnt lgkmcnt(0)
	s_barrier
	buffer_gl0_inv
	ds_load_u8 v9, v0 offset:256
	ds_load_u8 v10, v0 offset:768
	;; [unrolled: 1-line block ×4, first 2 shown]
	ds_load_u8 v16, v0
	ds_load_u8 v15, v0 offset:512
	ds_load_u8 v14, v0 offset:1024
	;; [unrolled: 1-line block ×3, first 2 shown]
	s_cmp_lg_u32 s3, 0
	s_waitcnt lgkmcnt(0)
	s_barrier
	buffer_gl0_inv
	v_lshlrev_b16 v17, 8, v9
	v_lshlrev_b16 v18, 8, v10
	;; [unrolled: 1-line block ×4, first 2 shown]
	s_delay_alu instid0(VALU_DEP_4) | instskip(NEXT) | instid1(VALU_DEP_4)
	v_or_b32_e32 v17, v16, v17
	v_or_b32_e32 v18, v15, v18
	s_delay_alu instid0(VALU_DEP_4) | instskip(NEXT) | instid1(VALU_DEP_4)
	v_or_b32_e32 v19, v14, v19
	v_or_b32_e32 v20, v13, v20
	s_delay_alu instid0(VALU_DEP_4) | instskip(NEXT) | instid1(VALU_DEP_4)
	v_and_b32_e32 v17, 0xffff, v17
	v_lshlrev_b32_e32 v18, 16, v18
	s_delay_alu instid0(VALU_DEP_4) | instskip(NEXT) | instid1(VALU_DEP_4)
	v_and_b32_e32 v19, 0xffff, v19
	v_lshlrev_b32_e32 v20, 16, v20
	s_delay_alu instid0(VALU_DEP_3) | instskip(NEXT) | instid1(VALU_DEP_2)
	v_or_b32_e32 v18, v17, v18
	v_or_b32_e32 v17, v19, v20
	s_cbranch_scc1 .LBB161_1
; %bb.2:
	s_add_u32 s0, s0, s2
	s_addc_u32 s1, s1, 0
	v_add_co_u32 v0, s0, s0, v0
	s_delay_alu instid0(VALU_DEP_1)
	v_add_co_ci_u32_e64 v1, null, s1, 0, s0
	s_clause 0x7
	global_store_b8 v[0:1], v16, off
	global_store_b8 v[0:1], v9, off offset:256
	global_store_b8 v[0:1], v15, off offset:512
	;; [unrolled: 1-line block ×7, first 2 shown]
	s_nop 0
	s_sendmsg sendmsg(MSG_DEALLOC_VGPRS)
	s_endpgm
	.section	.rodata,"a",@progbits
	.p2align	6, 0x0
	.amdhsa_kernel _Z6kernelI18scatter_to_stripedaLj256ELj8ELj100EEvPKT0_PKjPS1_
		.amdhsa_group_segment_fixed_size 2112
		.amdhsa_private_segment_fixed_size 0
		.amdhsa_kernarg_size 24
		.amdhsa_user_sgpr_count 15
		.amdhsa_user_sgpr_dispatch_ptr 0
		.amdhsa_user_sgpr_queue_ptr 0
		.amdhsa_user_sgpr_kernarg_segment_ptr 1
		.amdhsa_user_sgpr_dispatch_id 0
		.amdhsa_user_sgpr_private_segment_size 0
		.amdhsa_wavefront_size32 1
		.amdhsa_uses_dynamic_stack 0
		.amdhsa_enable_private_segment 0
		.amdhsa_system_sgpr_workgroup_id_x 1
		.amdhsa_system_sgpr_workgroup_id_y 0
		.amdhsa_system_sgpr_workgroup_id_z 0
		.amdhsa_system_sgpr_workgroup_info 0
		.amdhsa_system_vgpr_workitem_id 0
		.amdhsa_next_free_vgpr 21
		.amdhsa_next_free_sgpr 16
		.amdhsa_reserve_vcc 1
		.amdhsa_float_round_mode_32 0
		.amdhsa_float_round_mode_16_64 0
		.amdhsa_float_denorm_mode_32 3
		.amdhsa_float_denorm_mode_16_64 3
		.amdhsa_dx10_clamp 1
		.amdhsa_ieee_mode 1
		.amdhsa_fp16_overflow 0
		.amdhsa_workgroup_processor_mode 1
		.amdhsa_memory_ordered 1
		.amdhsa_forward_progress 0
		.amdhsa_shared_vgpr_count 0
		.amdhsa_exception_fp_ieee_invalid_op 0
		.amdhsa_exception_fp_denorm_src 0
		.amdhsa_exception_fp_ieee_div_zero 0
		.amdhsa_exception_fp_ieee_overflow 0
		.amdhsa_exception_fp_ieee_underflow 0
		.amdhsa_exception_fp_ieee_inexact 0
		.amdhsa_exception_int_div_zero 0
	.end_amdhsa_kernel
	.section	.text._Z6kernelI18scatter_to_stripedaLj256ELj8ELj100EEvPKT0_PKjPS1_,"axG",@progbits,_Z6kernelI18scatter_to_stripedaLj256ELj8ELj100EEvPKT0_PKjPS1_,comdat
.Lfunc_end161:
	.size	_Z6kernelI18scatter_to_stripedaLj256ELj8ELj100EEvPKT0_PKjPS1_, .Lfunc_end161-_Z6kernelI18scatter_to_stripedaLj256ELj8ELj100EEvPKT0_PKjPS1_
                                        ; -- End function
	.section	.AMDGPU.csdata,"",@progbits
; Kernel info:
; codeLenInByte = 772
; NumSgprs: 18
; NumVgprs: 21
; ScratchSize: 0
; MemoryBound: 0
; FloatMode: 240
; IeeeMode: 1
; LDSByteSize: 2112 bytes/workgroup (compile time only)
; SGPRBlocks: 2
; VGPRBlocks: 2
; NumSGPRsForWavesPerEU: 18
; NumVGPRsForWavesPerEU: 21
; Occupancy: 16
; WaveLimiterHint : 1
; COMPUTE_PGM_RSRC2:SCRATCH_EN: 0
; COMPUTE_PGM_RSRC2:USER_SGPR: 15
; COMPUTE_PGM_RSRC2:TRAP_HANDLER: 0
; COMPUTE_PGM_RSRC2:TGID_X_EN: 1
; COMPUTE_PGM_RSRC2:TGID_Y_EN: 0
; COMPUTE_PGM_RSRC2:TGID_Z_EN: 0
; COMPUTE_PGM_RSRC2:TIDIG_COMP_CNT: 0
	.section	.text._Z6kernelI18scatter_to_stripedxLj256ELj1ELj100EEvPKT0_PKjPS1_,"axG",@progbits,_Z6kernelI18scatter_to_stripedxLj256ELj1ELj100EEvPKT0_PKjPS1_,comdat
	.protected	_Z6kernelI18scatter_to_stripedxLj256ELj1ELj100EEvPKT0_PKjPS1_ ; -- Begin function _Z6kernelI18scatter_to_stripedxLj256ELj1ELj100EEvPKT0_PKjPS1_
	.globl	_Z6kernelI18scatter_to_stripedxLj256ELj1ELj100EEvPKT0_PKjPS1_
	.p2align	8
	.type	_Z6kernelI18scatter_to_stripedxLj256ELj1ELj100EEvPKT0_PKjPS1_,@function
_Z6kernelI18scatter_to_stripedxLj256ELj1ELj100EEvPKT0_PKjPS1_: ; @_Z6kernelI18scatter_to_stripedxLj256ELj1ELj100EEvPKT0_PKjPS1_
; %bb.0:
	s_load_b128 s[4:7], s[0:1], 0x0
	s_mov_b32 s9, 0
	s_lshl_b32 s8, s15, 8
	v_lshlrev_b32_e32 v1, 2, v0
	s_lshl_b64 s[2:3], s[8:9], 3
	v_lshlrev_b32_e32 v3, 3, v0
	s_load_b64 s[0:1], s[0:1], 0x10
	s_waitcnt lgkmcnt(0)
	s_add_u32 s4, s4, s2
	s_addc_u32 s5, s5, s3
	s_lshl_b64 s[8:9], s[8:9], 2
	s_delay_alu instid0(SALU_CYCLE_1)
	s_add_u32 s6, s6, s8
	s_addc_u32 s7, s7, s9
	global_load_b32 v4, v1, s[6:7]
	global_load_b64 v[1:2], v3, s[4:5]
	s_movk_i32 s4, 0x64
	s_waitcnt vmcnt(1)
	v_lshlrev_b32_e32 v4, 3, v4
.LBB162_1:                              ; =>This Inner Loop Header: Depth=1
	s_waitcnt vmcnt(0)
	ds_store_b64 v4, v[1:2]
	s_waitcnt lgkmcnt(0)
	s_barrier
	buffer_gl0_inv
	ds_load_b64 v[1:2], v3
	s_add_i32 s4, s4, -1
	s_waitcnt lgkmcnt(0)
	s_cmp_lg_u32 s4, 0
	s_barrier
	buffer_gl0_inv
	s_cbranch_scc1 .LBB162_1
; %bb.2:
	v_lshlrev_b32_e32 v0, 3, v0
	s_add_u32 s0, s0, s2
	s_addc_u32 s1, s1, s3
	global_store_b64 v0, v[1:2], s[0:1]
	s_nop 0
	s_sendmsg sendmsg(MSG_DEALLOC_VGPRS)
	s_endpgm
	.section	.rodata,"a",@progbits
	.p2align	6, 0x0
	.amdhsa_kernel _Z6kernelI18scatter_to_stripedxLj256ELj1ELj100EEvPKT0_PKjPS1_
		.amdhsa_group_segment_fixed_size 2048
		.amdhsa_private_segment_fixed_size 0
		.amdhsa_kernarg_size 24
		.amdhsa_user_sgpr_count 15
		.amdhsa_user_sgpr_dispatch_ptr 0
		.amdhsa_user_sgpr_queue_ptr 0
		.amdhsa_user_sgpr_kernarg_segment_ptr 1
		.amdhsa_user_sgpr_dispatch_id 0
		.amdhsa_user_sgpr_private_segment_size 0
		.amdhsa_wavefront_size32 1
		.amdhsa_uses_dynamic_stack 0
		.amdhsa_enable_private_segment 0
		.amdhsa_system_sgpr_workgroup_id_x 1
		.amdhsa_system_sgpr_workgroup_id_y 0
		.amdhsa_system_sgpr_workgroup_id_z 0
		.amdhsa_system_sgpr_workgroup_info 0
		.amdhsa_system_vgpr_workitem_id 0
		.amdhsa_next_free_vgpr 5
		.amdhsa_next_free_sgpr 16
		.amdhsa_reserve_vcc 0
		.amdhsa_float_round_mode_32 0
		.amdhsa_float_round_mode_16_64 0
		.amdhsa_float_denorm_mode_32 3
		.amdhsa_float_denorm_mode_16_64 3
		.amdhsa_dx10_clamp 1
		.amdhsa_ieee_mode 1
		.amdhsa_fp16_overflow 0
		.amdhsa_workgroup_processor_mode 1
		.amdhsa_memory_ordered 1
		.amdhsa_forward_progress 0
		.amdhsa_shared_vgpr_count 0
		.amdhsa_exception_fp_ieee_invalid_op 0
		.amdhsa_exception_fp_denorm_src 0
		.amdhsa_exception_fp_ieee_div_zero 0
		.amdhsa_exception_fp_ieee_overflow 0
		.amdhsa_exception_fp_ieee_underflow 0
		.amdhsa_exception_fp_ieee_inexact 0
		.amdhsa_exception_int_div_zero 0
	.end_amdhsa_kernel
	.section	.text._Z6kernelI18scatter_to_stripedxLj256ELj1ELj100EEvPKT0_PKjPS1_,"axG",@progbits,_Z6kernelI18scatter_to_stripedxLj256ELj1ELj100EEvPKT0_PKjPS1_,comdat
.Lfunc_end162:
	.size	_Z6kernelI18scatter_to_stripedxLj256ELj1ELj100EEvPKT0_PKjPS1_, .Lfunc_end162-_Z6kernelI18scatter_to_stripedxLj256ELj1ELj100EEvPKT0_PKjPS1_
                                        ; -- End function
	.section	.AMDGPU.csdata,"",@progbits
; Kernel info:
; codeLenInByte = 188
; NumSgprs: 16
; NumVgprs: 5
; ScratchSize: 0
; MemoryBound: 0
; FloatMode: 240
; IeeeMode: 1
; LDSByteSize: 2048 bytes/workgroup (compile time only)
; SGPRBlocks: 1
; VGPRBlocks: 0
; NumSGPRsForWavesPerEU: 16
; NumVGPRsForWavesPerEU: 5
; Occupancy: 16
; WaveLimiterHint : 0
; COMPUTE_PGM_RSRC2:SCRATCH_EN: 0
; COMPUTE_PGM_RSRC2:USER_SGPR: 15
; COMPUTE_PGM_RSRC2:TRAP_HANDLER: 0
; COMPUTE_PGM_RSRC2:TGID_X_EN: 1
; COMPUTE_PGM_RSRC2:TGID_Y_EN: 0
; COMPUTE_PGM_RSRC2:TGID_Z_EN: 0
; COMPUTE_PGM_RSRC2:TIDIG_COMP_CNT: 0
	.section	.text._Z6kernelI18scatter_to_stripedxLj256ELj2ELj100EEvPKT0_PKjPS1_,"axG",@progbits,_Z6kernelI18scatter_to_stripedxLj256ELj2ELj100EEvPKT0_PKjPS1_,comdat
	.protected	_Z6kernelI18scatter_to_stripedxLj256ELj2ELj100EEvPKT0_PKjPS1_ ; -- Begin function _Z6kernelI18scatter_to_stripedxLj256ELj2ELj100EEvPKT0_PKjPS1_
	.globl	_Z6kernelI18scatter_to_stripedxLj256ELj2ELj100EEvPKT0_PKjPS1_
	.p2align	8
	.type	_Z6kernelI18scatter_to_stripedxLj256ELj2ELj100EEvPKT0_PKjPS1_,@function
_Z6kernelI18scatter_to_stripedxLj256ELj2ELj100EEvPKT0_PKjPS1_: ; @_Z6kernelI18scatter_to_stripedxLj256ELj2ELj100EEvPKT0_PKjPS1_
; %bb.0:
	s_load_b128 s[4:7], s[0:1], 0x0
	s_mov_b32 s9, 0
	s_lshl_b32 s8, s15, 9
	v_lshlrev_b32_e32 v1, 2, v0
	s_lshl_b64 s[2:3], s[8:9], 3
	v_lshlrev_b32_e32 v5, 3, v0
	s_load_b64 s[0:1], s[0:1], 0x10
	s_waitcnt lgkmcnt(0)
	s_add_u32 s4, s4, s2
	s_addc_u32 s5, s5, s3
	s_lshl_b64 s[8:9], s[8:9], 2
	s_delay_alu instid0(SALU_CYCLE_1)
	s_add_u32 s6, s6, s8
	s_addc_u32 s7, s7, s9
	s_clause 0x1
	global_load_b32 v6, v1, s[6:7]
	global_load_b32 v7, v1, s[6:7] offset:1024
	s_clause 0x1
	global_load_b64 v[1:2], v5, s[4:5]
	global_load_b64 v[3:4], v5, s[4:5] offset:2048
	s_movk_i32 s4, 0x64
	s_waitcnt vmcnt(3)
	v_lshlrev_b32_e32 v6, 3, v6
	s_waitcnt vmcnt(2)
	v_lshlrev_b32_e32 v7, 3, v7
.LBB163_1:                              ; =>This Inner Loop Header: Depth=1
	s_waitcnt vmcnt(1)
	ds_store_b64 v6, v[1:2]
	s_waitcnt vmcnt(0)
	ds_store_b64 v7, v[3:4]
	s_waitcnt lgkmcnt(0)
	s_barrier
	buffer_gl0_inv
	ds_load_2addr_stride64_b64 v[1:4], v5 offset1:4
	s_add_i32 s4, s4, -1
	s_waitcnt lgkmcnt(0)
	s_cmp_lg_u32 s4, 0
	s_barrier
	buffer_gl0_inv
	s_cbranch_scc1 .LBB163_1
; %bb.2:
	v_lshlrev_b32_e32 v0, 3, v0
	s_add_u32 s0, s0, s2
	s_addc_u32 s1, s1, s3
	s_clause 0x1
	global_store_b64 v0, v[1:2], s[0:1]
	global_store_b64 v0, v[3:4], s[0:1] offset:2048
	s_nop 0
	s_sendmsg sendmsg(MSG_DEALLOC_VGPRS)
	s_endpgm
	.section	.rodata,"a",@progbits
	.p2align	6, 0x0
	.amdhsa_kernel _Z6kernelI18scatter_to_stripedxLj256ELj2ELj100EEvPKT0_PKjPS1_
		.amdhsa_group_segment_fixed_size 4224
		.amdhsa_private_segment_fixed_size 0
		.amdhsa_kernarg_size 24
		.amdhsa_user_sgpr_count 15
		.amdhsa_user_sgpr_dispatch_ptr 0
		.amdhsa_user_sgpr_queue_ptr 0
		.amdhsa_user_sgpr_kernarg_segment_ptr 1
		.amdhsa_user_sgpr_dispatch_id 0
		.amdhsa_user_sgpr_private_segment_size 0
		.amdhsa_wavefront_size32 1
		.amdhsa_uses_dynamic_stack 0
		.amdhsa_enable_private_segment 0
		.amdhsa_system_sgpr_workgroup_id_x 1
		.amdhsa_system_sgpr_workgroup_id_y 0
		.amdhsa_system_sgpr_workgroup_id_z 0
		.amdhsa_system_sgpr_workgroup_info 0
		.amdhsa_system_vgpr_workitem_id 0
		.amdhsa_next_free_vgpr 8
		.amdhsa_next_free_sgpr 16
		.amdhsa_reserve_vcc 0
		.amdhsa_float_round_mode_32 0
		.amdhsa_float_round_mode_16_64 0
		.amdhsa_float_denorm_mode_32 3
		.amdhsa_float_denorm_mode_16_64 3
		.amdhsa_dx10_clamp 1
		.amdhsa_ieee_mode 1
		.amdhsa_fp16_overflow 0
		.amdhsa_workgroup_processor_mode 1
		.amdhsa_memory_ordered 1
		.amdhsa_forward_progress 0
		.amdhsa_shared_vgpr_count 0
		.amdhsa_exception_fp_ieee_invalid_op 0
		.amdhsa_exception_fp_denorm_src 0
		.amdhsa_exception_fp_ieee_div_zero 0
		.amdhsa_exception_fp_ieee_overflow 0
		.amdhsa_exception_fp_ieee_underflow 0
		.amdhsa_exception_fp_ieee_inexact 0
		.amdhsa_exception_int_div_zero 0
	.end_amdhsa_kernel
	.section	.text._Z6kernelI18scatter_to_stripedxLj256ELj2ELj100EEvPKT0_PKjPS1_,"axG",@progbits,_Z6kernelI18scatter_to_stripedxLj256ELj2ELj100EEvPKT0_PKjPS1_,comdat
.Lfunc_end163:
	.size	_Z6kernelI18scatter_to_stripedxLj256ELj2ELj100EEvPKT0_PKjPS1_, .Lfunc_end163-_Z6kernelI18scatter_to_stripedxLj256ELj2ELj100EEvPKT0_PKjPS1_
                                        ; -- End function
	.section	.AMDGPU.csdata,"",@progbits
; Kernel info:
; codeLenInByte = 244
; NumSgprs: 16
; NumVgprs: 8
; ScratchSize: 0
; MemoryBound: 0
; FloatMode: 240
; IeeeMode: 1
; LDSByteSize: 4224 bytes/workgroup (compile time only)
; SGPRBlocks: 1
; VGPRBlocks: 0
; NumSGPRsForWavesPerEU: 16
; NumVGPRsForWavesPerEU: 8
; Occupancy: 16
; WaveLimiterHint : 1
; COMPUTE_PGM_RSRC2:SCRATCH_EN: 0
; COMPUTE_PGM_RSRC2:USER_SGPR: 15
; COMPUTE_PGM_RSRC2:TRAP_HANDLER: 0
; COMPUTE_PGM_RSRC2:TGID_X_EN: 1
; COMPUTE_PGM_RSRC2:TGID_Y_EN: 0
; COMPUTE_PGM_RSRC2:TGID_Z_EN: 0
; COMPUTE_PGM_RSRC2:TIDIG_COMP_CNT: 0
	.section	.text._Z6kernelI18scatter_to_stripedxLj256ELj3ELj100EEvPKT0_PKjPS1_,"axG",@progbits,_Z6kernelI18scatter_to_stripedxLj256ELj3ELj100EEvPKT0_PKjPS1_,comdat
	.protected	_Z6kernelI18scatter_to_stripedxLj256ELj3ELj100EEvPKT0_PKjPS1_ ; -- Begin function _Z6kernelI18scatter_to_stripedxLj256ELj3ELj100EEvPKT0_PKjPS1_
	.globl	_Z6kernelI18scatter_to_stripedxLj256ELj3ELj100EEvPKT0_PKjPS1_
	.p2align	8
	.type	_Z6kernelI18scatter_to_stripedxLj256ELj3ELj100EEvPKT0_PKjPS1_,@function
_Z6kernelI18scatter_to_stripedxLj256ELj3ELj100EEvPKT0_PKjPS1_: ; @_Z6kernelI18scatter_to_stripedxLj256ELj3ELj100EEvPKT0_PKjPS1_
; %bb.0:
	s_load_b128 s[4:7], s[0:1], 0x0
	s_mov_b32 s9, 0
	s_mul_i32 s8, s15, 0x300
	v_lshlrev_b32_e32 v7, 3, v0
	s_lshl_b64 s[2:3], s[8:9], 3
	v_lshlrev_b32_e32 v1, 2, v0
	s_load_b64 s[0:1], s[0:1], 0x10
	s_waitcnt lgkmcnt(0)
	s_add_u32 s4, s4, s2
	s_addc_u32 s5, s5, s3
	v_add_co_u32 v2, s10, s4, v7
	s_delay_alu instid0(VALU_DEP_1) | instskip(SKIP_1) | instid1(VALU_DEP_2)
	v_add_co_ci_u32_e64 v3, null, s5, 0, s10
	s_lshl_b64 s[8:9], s[8:9], 2
	v_add_co_u32 v5, vcc_lo, 0x1000, v2
	s_add_u32 s6, s6, s8
	s_addc_u32 s7, s7, s9
	v_add_co_ci_u32_e32 v6, vcc_lo, 0, v3, vcc_lo
	s_clause 0x2
	global_load_b32 v8, v1, s[6:7]
	global_load_b32 v9, v1, s[6:7] offset:1024
	global_load_b32 v10, v1, s[6:7] offset:2048
	s_clause 0x2
	global_load_b64 v[1:2], v7, s[4:5]
	global_load_b64 v[3:4], v7, s[4:5] offset:2048
	global_load_b64 v[5:6], v[5:6], off
	s_movk_i32 s4, 0x64
	s_waitcnt vmcnt(5)
	v_lshlrev_b32_e32 v8, 3, v8
	s_waitcnt vmcnt(4)
	v_lshlrev_b32_e32 v9, 3, v9
	;; [unrolled: 2-line block ×3, first 2 shown]
.LBB164_1:                              ; =>This Inner Loop Header: Depth=1
	s_waitcnt vmcnt(2)
	ds_store_b64 v8, v[1:2]
	s_waitcnt vmcnt(1)
	ds_store_b64 v9, v[3:4]
	;; [unrolled: 2-line block ×3, first 2 shown]
	s_waitcnt lgkmcnt(0)
	s_barrier
	buffer_gl0_inv
	ds_load_2addr_stride64_b64 v[1:4], v7 offset1:4
	ds_load_b64 v[5:6], v7 offset:4096
	s_add_i32 s4, s4, -1
	s_waitcnt lgkmcnt(0)
	s_cmp_lg_u32 s4, 0
	s_barrier
	buffer_gl0_inv
	s_cbranch_scc1 .LBB164_1
; %bb.2:
	v_lshlrev_b32_e32 v0, 3, v0
	s_add_u32 s0, s0, s2
	s_addc_u32 s1, s1, s3
	s_delay_alu instid0(VALU_DEP_1) | instskip(NEXT) | instid1(VALU_DEP_1)
	v_add_co_u32 v7, s2, s0, v0
	v_add_co_ci_u32_e64 v8, null, s1, 0, s2
	s_delay_alu instid0(VALU_DEP_2) | instskip(NEXT) | instid1(VALU_DEP_2)
	v_add_co_u32 v7, vcc_lo, 0x1000, v7
	v_add_co_ci_u32_e32 v8, vcc_lo, 0, v8, vcc_lo
	s_clause 0x2
	global_store_b64 v0, v[1:2], s[0:1]
	global_store_b64 v0, v[3:4], s[0:1] offset:2048
	global_store_b64 v[7:8], v[5:6], off
	s_nop 0
	s_sendmsg sendmsg(MSG_DEALLOC_VGPRS)
	s_endpgm
	.section	.rodata,"a",@progbits
	.p2align	6, 0x0
	.amdhsa_kernel _Z6kernelI18scatter_to_stripedxLj256ELj3ELj100EEvPKT0_PKjPS1_
		.amdhsa_group_segment_fixed_size 6144
		.amdhsa_private_segment_fixed_size 0
		.amdhsa_kernarg_size 24
		.amdhsa_user_sgpr_count 15
		.amdhsa_user_sgpr_dispatch_ptr 0
		.amdhsa_user_sgpr_queue_ptr 0
		.amdhsa_user_sgpr_kernarg_segment_ptr 1
		.amdhsa_user_sgpr_dispatch_id 0
		.amdhsa_user_sgpr_private_segment_size 0
		.amdhsa_wavefront_size32 1
		.amdhsa_uses_dynamic_stack 0
		.amdhsa_enable_private_segment 0
		.amdhsa_system_sgpr_workgroup_id_x 1
		.amdhsa_system_sgpr_workgroup_id_y 0
		.amdhsa_system_sgpr_workgroup_id_z 0
		.amdhsa_system_sgpr_workgroup_info 0
		.amdhsa_system_vgpr_workitem_id 0
		.amdhsa_next_free_vgpr 11
		.amdhsa_next_free_sgpr 16
		.amdhsa_reserve_vcc 1
		.amdhsa_float_round_mode_32 0
		.amdhsa_float_round_mode_16_64 0
		.amdhsa_float_denorm_mode_32 3
		.amdhsa_float_denorm_mode_16_64 3
		.amdhsa_dx10_clamp 1
		.amdhsa_ieee_mode 1
		.amdhsa_fp16_overflow 0
		.amdhsa_workgroup_processor_mode 1
		.amdhsa_memory_ordered 1
		.amdhsa_forward_progress 0
		.amdhsa_shared_vgpr_count 0
		.amdhsa_exception_fp_ieee_invalid_op 0
		.amdhsa_exception_fp_denorm_src 0
		.amdhsa_exception_fp_ieee_div_zero 0
		.amdhsa_exception_fp_ieee_overflow 0
		.amdhsa_exception_fp_ieee_underflow 0
		.amdhsa_exception_fp_ieee_inexact 0
		.amdhsa_exception_int_div_zero 0
	.end_amdhsa_kernel
	.section	.text._Z6kernelI18scatter_to_stripedxLj256ELj3ELj100EEvPKT0_PKjPS1_,"axG",@progbits,_Z6kernelI18scatter_to_stripedxLj256ELj3ELj100EEvPKT0_PKjPS1_,comdat
.Lfunc_end164:
	.size	_Z6kernelI18scatter_to_stripedxLj256ELj3ELj100EEvPKT0_PKjPS1_, .Lfunc_end164-_Z6kernelI18scatter_to_stripedxLj256ELj3ELj100EEvPKT0_PKjPS1_
                                        ; -- End function
	.section	.AMDGPU.csdata,"",@progbits
; Kernel info:
; codeLenInByte = 372
; NumSgprs: 18
; NumVgprs: 11
; ScratchSize: 0
; MemoryBound: 0
; FloatMode: 240
; IeeeMode: 1
; LDSByteSize: 6144 bytes/workgroup (compile time only)
; SGPRBlocks: 2
; VGPRBlocks: 1
; NumSGPRsForWavesPerEU: 18
; NumVGPRsForWavesPerEU: 11
; Occupancy: 16
; WaveLimiterHint : 1
; COMPUTE_PGM_RSRC2:SCRATCH_EN: 0
; COMPUTE_PGM_RSRC2:USER_SGPR: 15
; COMPUTE_PGM_RSRC2:TRAP_HANDLER: 0
; COMPUTE_PGM_RSRC2:TGID_X_EN: 1
; COMPUTE_PGM_RSRC2:TGID_Y_EN: 0
; COMPUTE_PGM_RSRC2:TGID_Z_EN: 0
; COMPUTE_PGM_RSRC2:TIDIG_COMP_CNT: 0
	.section	.text._Z6kernelI18scatter_to_stripedxLj256ELj4ELj100EEvPKT0_PKjPS1_,"axG",@progbits,_Z6kernelI18scatter_to_stripedxLj256ELj4ELj100EEvPKT0_PKjPS1_,comdat
	.protected	_Z6kernelI18scatter_to_stripedxLj256ELj4ELj100EEvPKT0_PKjPS1_ ; -- Begin function _Z6kernelI18scatter_to_stripedxLj256ELj4ELj100EEvPKT0_PKjPS1_
	.globl	_Z6kernelI18scatter_to_stripedxLj256ELj4ELj100EEvPKT0_PKjPS1_
	.p2align	8
	.type	_Z6kernelI18scatter_to_stripedxLj256ELj4ELj100EEvPKT0_PKjPS1_,@function
_Z6kernelI18scatter_to_stripedxLj256ELj4ELj100EEvPKT0_PKjPS1_: ; @_Z6kernelI18scatter_to_stripedxLj256ELj4ELj100EEvPKT0_PKjPS1_
; %bb.0:
	s_load_b128 s[4:7], s[0:1], 0x0
	s_mov_b32 s9, 0
	s_lshl_b32 s8, s15, 10
	v_lshlrev_b32_e32 v9, 3, v0
	s_lshl_b64 s[2:3], s[8:9], 3
	v_lshlrev_b32_e32 v1, 2, v0
	s_load_b64 s[0:1], s[0:1], 0x10
	s_waitcnt lgkmcnt(0)
	s_add_u32 s4, s4, s2
	s_addc_u32 s5, s5, s3
	v_add_co_u32 v2, s10, s4, v9
	s_delay_alu instid0(VALU_DEP_1) | instskip(SKIP_1) | instid1(VALU_DEP_2)
	v_add_co_ci_u32_e64 v4, null, s5, 0, s10
	s_lshl_b64 s[8:9], s[8:9], 2
	v_add_co_u32 v3, vcc_lo, 0x1000, v2
	s_add_u32 s6, s6, s8
	s_addc_u32 s7, s7, s9
	v_add_co_ci_u32_e32 v4, vcc_lo, 0, v4, vcc_lo
	s_clause 0x3
	global_load_b32 v10, v1, s[6:7]
	global_load_b32 v11, v1, s[6:7] offset:1024
	global_load_b32 v12, v1, s[6:7] offset:2048
	;; [unrolled: 1-line block ×3, first 2 shown]
	s_clause 0x3
	global_load_b64 v[5:6], v9, s[4:5]
	global_load_b64 v[7:8], v9, s[4:5] offset:2048
	global_load_b64 v[1:2], v[3:4], off
	global_load_b64 v[3:4], v[3:4], off offset:2048
	s_movk_i32 s4, 0x64
	s_waitcnt vmcnt(7)
	v_lshlrev_b32_e32 v10, 3, v10
	s_waitcnt vmcnt(6)
	v_lshlrev_b32_e32 v11, 3, v11
	;; [unrolled: 2-line block ×4, first 2 shown]
	.p2align	6
.LBB165_1:                              ; =>This Inner Loop Header: Depth=1
	s_waitcnt vmcnt(3)
	ds_store_b64 v10, v[5:6]
	s_waitcnt vmcnt(2)
	ds_store_b64 v11, v[7:8]
	;; [unrolled: 2-line block ×4, first 2 shown]
	s_waitcnt lgkmcnt(0)
	s_barrier
	buffer_gl0_inv
	ds_load_2addr_stride64_b64 v[5:8], v9 offset1:4
	ds_load_2addr_stride64_b64 v[1:4], v9 offset0:8 offset1:12
	s_add_i32 s4, s4, -1
	s_waitcnt lgkmcnt(0)
	s_cmp_lg_u32 s4, 0
	s_barrier
	buffer_gl0_inv
	s_cbranch_scc1 .LBB165_1
; %bb.2:
	v_lshlrev_b32_e32 v0, 3, v0
	s_add_u32 s0, s0, s2
	s_addc_u32 s1, s1, s3
	s_delay_alu instid0(VALU_DEP_1) | instskip(NEXT) | instid1(VALU_DEP_1)
	v_add_co_u32 v9, s2, s0, v0
	v_add_co_ci_u32_e64 v10, null, s1, 0, s2
	s_delay_alu instid0(VALU_DEP_2) | instskip(NEXT) | instid1(VALU_DEP_2)
	v_add_co_u32 v9, vcc_lo, 0x1000, v9
	v_add_co_ci_u32_e32 v10, vcc_lo, 0, v10, vcc_lo
	s_clause 0x3
	global_store_b64 v0, v[5:6], s[0:1]
	global_store_b64 v0, v[7:8], s[0:1] offset:2048
	global_store_b64 v[9:10], v[1:2], off
	global_store_b64 v[9:10], v[3:4], off offset:2048
	s_nop 0
	s_sendmsg sendmsg(MSG_DEALLOC_VGPRS)
	s_endpgm
	.section	.rodata,"a",@progbits
	.p2align	6, 0x0
	.amdhsa_kernel _Z6kernelI18scatter_to_stripedxLj256ELj4ELj100EEvPKT0_PKjPS1_
		.amdhsa_group_segment_fixed_size 8448
		.amdhsa_private_segment_fixed_size 0
		.amdhsa_kernarg_size 24
		.amdhsa_user_sgpr_count 15
		.amdhsa_user_sgpr_dispatch_ptr 0
		.amdhsa_user_sgpr_queue_ptr 0
		.amdhsa_user_sgpr_kernarg_segment_ptr 1
		.amdhsa_user_sgpr_dispatch_id 0
		.amdhsa_user_sgpr_private_segment_size 0
		.amdhsa_wavefront_size32 1
		.amdhsa_uses_dynamic_stack 0
		.amdhsa_enable_private_segment 0
		.amdhsa_system_sgpr_workgroup_id_x 1
		.amdhsa_system_sgpr_workgroup_id_y 0
		.amdhsa_system_sgpr_workgroup_id_z 0
		.amdhsa_system_sgpr_workgroup_info 0
		.amdhsa_system_vgpr_workitem_id 0
		.amdhsa_next_free_vgpr 14
		.amdhsa_next_free_sgpr 16
		.amdhsa_reserve_vcc 1
		.amdhsa_float_round_mode_32 0
		.amdhsa_float_round_mode_16_64 0
		.amdhsa_float_denorm_mode_32 3
		.amdhsa_float_denorm_mode_16_64 3
		.amdhsa_dx10_clamp 1
		.amdhsa_ieee_mode 1
		.amdhsa_fp16_overflow 0
		.amdhsa_workgroup_processor_mode 1
		.amdhsa_memory_ordered 1
		.amdhsa_forward_progress 0
		.amdhsa_shared_vgpr_count 0
		.amdhsa_exception_fp_ieee_invalid_op 0
		.amdhsa_exception_fp_denorm_src 0
		.amdhsa_exception_fp_ieee_div_zero 0
		.amdhsa_exception_fp_ieee_overflow 0
		.amdhsa_exception_fp_ieee_underflow 0
		.amdhsa_exception_fp_ieee_inexact 0
		.amdhsa_exception_int_div_zero 0
	.end_amdhsa_kernel
	.section	.text._Z6kernelI18scatter_to_stripedxLj256ELj4ELj100EEvPKT0_PKjPS1_,"axG",@progbits,_Z6kernelI18scatter_to_stripedxLj256ELj4ELj100EEvPKT0_PKjPS1_,comdat
.Lfunc_end165:
	.size	_Z6kernelI18scatter_to_stripedxLj256ELj4ELj100EEvPKT0_PKjPS1_, .Lfunc_end165-_Z6kernelI18scatter_to_stripedxLj256ELj4ELj100EEvPKT0_PKjPS1_
                                        ; -- End function
	.section	.AMDGPU.csdata,"",@progbits
; Kernel info:
; codeLenInByte = 412
; NumSgprs: 18
; NumVgprs: 14
; ScratchSize: 0
; MemoryBound: 0
; FloatMode: 240
; IeeeMode: 1
; LDSByteSize: 8448 bytes/workgroup (compile time only)
; SGPRBlocks: 2
; VGPRBlocks: 1
; NumSGPRsForWavesPerEU: 18
; NumVGPRsForWavesPerEU: 14
; Occupancy: 16
; WaveLimiterHint : 1
; COMPUTE_PGM_RSRC2:SCRATCH_EN: 0
; COMPUTE_PGM_RSRC2:USER_SGPR: 15
; COMPUTE_PGM_RSRC2:TRAP_HANDLER: 0
; COMPUTE_PGM_RSRC2:TGID_X_EN: 1
; COMPUTE_PGM_RSRC2:TGID_Y_EN: 0
; COMPUTE_PGM_RSRC2:TGID_Z_EN: 0
; COMPUTE_PGM_RSRC2:TIDIG_COMP_CNT: 0
	.section	.text._Z6kernelI18scatter_to_stripedxLj256ELj7ELj100EEvPKT0_PKjPS1_,"axG",@progbits,_Z6kernelI18scatter_to_stripedxLj256ELj7ELj100EEvPKT0_PKjPS1_,comdat
	.protected	_Z6kernelI18scatter_to_stripedxLj256ELj7ELj100EEvPKT0_PKjPS1_ ; -- Begin function _Z6kernelI18scatter_to_stripedxLj256ELj7ELj100EEvPKT0_PKjPS1_
	.globl	_Z6kernelI18scatter_to_stripedxLj256ELj7ELj100EEvPKT0_PKjPS1_
	.p2align	8
	.type	_Z6kernelI18scatter_to_stripedxLj256ELj7ELj100EEvPKT0_PKjPS1_,@function
_Z6kernelI18scatter_to_stripedxLj256ELj7ELj100EEvPKT0_PKjPS1_: ; @_Z6kernelI18scatter_to_stripedxLj256ELj7ELj100EEvPKT0_PKjPS1_
; %bb.0:
	s_load_b128 s[4:7], s[0:1], 0x0
	s_mov_b32 s9, 0
	s_mul_i32 s8, s15, 0x700
	v_lshlrev_b32_e32 v15, 3, v0
	s_lshl_b64 s[2:3], s[8:9], 3
	v_lshlrev_b32_e32 v16, 2, v0
	s_load_b64 s[0:1], s[0:1], 0x10
	s_waitcnt lgkmcnt(0)
	s_add_u32 s4, s4, s2
	s_addc_u32 s5, s5, s3
	v_add_co_u32 v5, s10, s4, v15
	s_delay_alu instid0(VALU_DEP_1) | instskip(SKIP_1) | instid1(VALU_DEP_2)
	v_add_co_ci_u32_e64 v6, null, s5, 0, s10
	s_lshl_b64 s[8:9], s[8:9], 2
	v_add_co_u32 v7, vcc_lo, 0x1000, v5
	s_delay_alu instid0(VALU_DEP_2)
	v_add_co_ci_u32_e32 v8, vcc_lo, 0, v6, vcc_lo
	v_add_co_u32 v9, vcc_lo, v5, 0x2000
	s_clause 0x1
	global_load_b64 v[1:2], v15, s[4:5]
	global_load_b64 v[3:4], v15, s[4:5] offset:2048
	v_add_co_ci_u32_e32 v10, vcc_lo, 0, v6, vcc_lo
	s_add_u32 s4, s6, s8
	v_add_co_u32 v11, vcc_lo, 0x2000, v5
	s_addc_u32 s5, s7, s9
	v_add_co_u32 v17, s6, s4, v16
	v_add_co_ci_u32_e32 v12, vcc_lo, 0, v6, vcc_lo
	v_add_co_ci_u32_e64 v18, null, s5, 0, s6
	v_add_co_u32 v13, vcc_lo, 0x3000, v5
	v_add_co_ci_u32_e32 v14, vcc_lo, 0, v6, vcc_lo
	v_add_co_u32 v5, vcc_lo, 0x1000, v17
	s_delay_alu instid0(VALU_DEP_4)
	v_add_co_ci_u32_e32 v6, vcc_lo, 0, v18, vcc_lo
	s_clause 0x6
	global_load_b32 v17, v16, s[4:5]
	global_load_b32 v18, v16, s[4:5] offset:1024
	global_load_b32 v19, v16, s[4:5] offset:2048
	global_load_b32 v20, v16, s[4:5] offset:3072
	global_load_b32 v21, v[5:6], off
	global_load_b32 v22, v[5:6], off offset:1024
	global_load_b32 v23, v[5:6], off offset:2048
	s_clause 0x4
	global_load_b64 v[5:6], v[9:10], off offset:-4096
	global_load_b64 v[9:10], v[9:10], off
	global_load_b64 v[7:8], v[7:8], off offset:2048
	global_load_b64 v[11:12], v[11:12], off offset:2048
	global_load_b64 v[13:14], v[13:14], off
	s_movk_i32 s4, 0x64
	s_waitcnt vmcnt(11)
	v_lshlrev_b32_e32 v16, 3, v17
	s_waitcnt vmcnt(10)
	v_lshlrev_b32_e32 v17, 3, v18
	;; [unrolled: 2-line block ×7, first 2 shown]
	.p2align	6
.LBB166_1:                              ; =>This Inner Loop Header: Depth=1
	ds_store_b64 v16, v[1:2]
	ds_store_b64 v17, v[3:4]
	s_waitcnt vmcnt(4)
	ds_store_b64 v18, v[5:6]
	s_waitcnt vmcnt(2)
	ds_store_b64 v19, v[7:8]
	ds_store_b64 v20, v[9:10]
	s_waitcnt vmcnt(1)
	ds_store_b64 v21, v[11:12]
	s_waitcnt vmcnt(0)
	ds_store_b64 v22, v[13:14]
	s_waitcnt lgkmcnt(0)
	s_barrier
	buffer_gl0_inv
	ds_load_2addr_stride64_b64 v[1:4], v15 offset1:4
	ds_load_2addr_stride64_b64 v[5:8], v15 offset0:8 offset1:12
	ds_load_2addr_stride64_b64 v[9:12], v15 offset0:16 offset1:20
	ds_load_b64 v[13:14], v15 offset:12288
	s_add_i32 s4, s4, -1
	s_waitcnt lgkmcnt(0)
	s_cmp_lg_u32 s4, 0
	s_barrier
	buffer_gl0_inv
	s_cbranch_scc1 .LBB166_1
; %bb.2:
	v_lshlrev_b32_e32 v0, 3, v0
	s_add_u32 s0, s0, s2
	s_addc_u32 s1, s1, s3
	s_delay_alu instid0(VALU_DEP_1) | instskip(NEXT) | instid1(VALU_DEP_1)
	v_add_co_u32 v21, s2, s0, v0
	v_add_co_ci_u32_e64 v22, null, s1, 0, s2
	s_delay_alu instid0(VALU_DEP_2) | instskip(NEXT) | instid1(VALU_DEP_2)
	v_add_co_u32 v15, vcc_lo, 0x1000, v21
	v_add_co_ci_u32_e32 v16, vcc_lo, 0, v22, vcc_lo
	v_add_co_u32 v17, vcc_lo, v21, 0x2000
	v_add_co_ci_u32_e32 v18, vcc_lo, 0, v22, vcc_lo
	;; [unrolled: 2-line block ×3, first 2 shown]
	global_store_b64 v[17:18], v[9:10], off
	v_add_co_u32 v9, vcc_lo, 0x3000, v21
	v_add_co_ci_u32_e32 v10, vcc_lo, 0, v22, vcc_lo
	s_clause 0x5
	global_store_b64 v0, v[1:2], s[0:1]
	global_store_b64 v0, v[3:4], s[0:1] offset:2048
	global_store_b64 v[15:16], v[7:8], off offset:2048
	global_store_b64 v[19:20], v[11:12], off offset:2048
	global_store_b64 v[17:18], v[5:6], off offset:-4096
	global_store_b64 v[9:10], v[13:14], off
	s_nop 0
	s_sendmsg sendmsg(MSG_DEALLOC_VGPRS)
	s_endpgm
	.section	.rodata,"a",@progbits
	.p2align	6, 0x0
	.amdhsa_kernel _Z6kernelI18scatter_to_stripedxLj256ELj7ELj100EEvPKT0_PKjPS1_
		.amdhsa_group_segment_fixed_size 14336
		.amdhsa_private_segment_fixed_size 0
		.amdhsa_kernarg_size 24
		.amdhsa_user_sgpr_count 15
		.amdhsa_user_sgpr_dispatch_ptr 0
		.amdhsa_user_sgpr_queue_ptr 0
		.amdhsa_user_sgpr_kernarg_segment_ptr 1
		.amdhsa_user_sgpr_dispatch_id 0
		.amdhsa_user_sgpr_private_segment_size 0
		.amdhsa_wavefront_size32 1
		.amdhsa_uses_dynamic_stack 0
		.amdhsa_enable_private_segment 0
		.amdhsa_system_sgpr_workgroup_id_x 1
		.amdhsa_system_sgpr_workgroup_id_y 0
		.amdhsa_system_sgpr_workgroup_id_z 0
		.amdhsa_system_sgpr_workgroup_info 0
		.amdhsa_system_vgpr_workitem_id 0
		.amdhsa_next_free_vgpr 24
		.amdhsa_next_free_sgpr 16
		.amdhsa_reserve_vcc 1
		.amdhsa_float_round_mode_32 0
		.amdhsa_float_round_mode_16_64 0
		.amdhsa_float_denorm_mode_32 3
		.amdhsa_float_denorm_mode_16_64 3
		.amdhsa_dx10_clamp 1
		.amdhsa_ieee_mode 1
		.amdhsa_fp16_overflow 0
		.amdhsa_workgroup_processor_mode 1
		.amdhsa_memory_ordered 1
		.amdhsa_forward_progress 0
		.amdhsa_shared_vgpr_count 0
		.amdhsa_exception_fp_ieee_invalid_op 0
		.amdhsa_exception_fp_denorm_src 0
		.amdhsa_exception_fp_ieee_div_zero 0
		.amdhsa_exception_fp_ieee_overflow 0
		.amdhsa_exception_fp_ieee_underflow 0
		.amdhsa_exception_fp_ieee_inexact 0
		.amdhsa_exception_int_div_zero 0
	.end_amdhsa_kernel
	.section	.text._Z6kernelI18scatter_to_stripedxLj256ELj7ELj100EEvPKT0_PKjPS1_,"axG",@progbits,_Z6kernelI18scatter_to_stripedxLj256ELj7ELj100EEvPKT0_PKjPS1_,comdat
.Lfunc_end166:
	.size	_Z6kernelI18scatter_to_stripedxLj256ELj7ELj100EEvPKT0_PKjPS1_, .Lfunc_end166-_Z6kernelI18scatter_to_stripedxLj256ELj7ELj100EEvPKT0_PKjPS1_
                                        ; -- End function
	.section	.AMDGPU.csdata,"",@progbits
; Kernel info:
; codeLenInByte = 692
; NumSgprs: 18
; NumVgprs: 24
; ScratchSize: 0
; MemoryBound: 1
; FloatMode: 240
; IeeeMode: 1
; LDSByteSize: 14336 bytes/workgroup (compile time only)
; SGPRBlocks: 2
; VGPRBlocks: 2
; NumSGPRsForWavesPerEU: 18
; NumVGPRsForWavesPerEU: 24
; Occupancy: 16
; WaveLimiterHint : 1
; COMPUTE_PGM_RSRC2:SCRATCH_EN: 0
; COMPUTE_PGM_RSRC2:USER_SGPR: 15
; COMPUTE_PGM_RSRC2:TRAP_HANDLER: 0
; COMPUTE_PGM_RSRC2:TGID_X_EN: 1
; COMPUTE_PGM_RSRC2:TGID_Y_EN: 0
; COMPUTE_PGM_RSRC2:TGID_Z_EN: 0
; COMPUTE_PGM_RSRC2:TIDIG_COMP_CNT: 0
	.section	.text._Z6kernelI18scatter_to_stripedxLj256ELj8ELj100EEvPKT0_PKjPS1_,"axG",@progbits,_Z6kernelI18scatter_to_stripedxLj256ELj8ELj100EEvPKT0_PKjPS1_,comdat
	.protected	_Z6kernelI18scatter_to_stripedxLj256ELj8ELj100EEvPKT0_PKjPS1_ ; -- Begin function _Z6kernelI18scatter_to_stripedxLj256ELj8ELj100EEvPKT0_PKjPS1_
	.globl	_Z6kernelI18scatter_to_stripedxLj256ELj8ELj100EEvPKT0_PKjPS1_
	.p2align	8
	.type	_Z6kernelI18scatter_to_stripedxLj256ELj8ELj100EEvPKT0_PKjPS1_,@function
_Z6kernelI18scatter_to_stripedxLj256ELj8ELj100EEvPKT0_PKjPS1_: ; @_Z6kernelI18scatter_to_stripedxLj256ELj8ELj100EEvPKT0_PKjPS1_
; %bb.0:
	s_load_b128 s[4:7], s[0:1], 0x0
	s_mov_b32 s9, 0
	s_lshl_b32 s8, s15, 11
	v_lshlrev_b32_e32 v17, 3, v0
	s_lshl_b64 s[2:3], s[8:9], 3
	v_lshlrev_b32_e32 v13, 2, v0
	s_load_b64 s[0:1], s[0:1], 0x10
	s_waitcnt lgkmcnt(0)
	s_add_u32 s4, s4, s2
	s_addc_u32 s5, s5, s3
	v_add_co_u32 v5, s10, s4, v17
	s_delay_alu instid0(VALU_DEP_1) | instskip(SKIP_1) | instid1(VALU_DEP_2)
	v_add_co_ci_u32_e64 v6, null, s5, 0, s10
	s_lshl_b64 s[8:9], s[8:9], 2
	v_add_co_u32 v7, vcc_lo, 0x1000, v5
	s_delay_alu instid0(VALU_DEP_2)
	v_add_co_ci_u32_e32 v8, vcc_lo, 0, v6, vcc_lo
	v_add_co_u32 v9, vcc_lo, v5, 0x2000
	s_clause 0x1
	global_load_b64 v[1:2], v17, s[4:5]
	global_load_b64 v[3:4], v17, s[4:5] offset:2048
	v_add_co_ci_u32_e32 v10, vcc_lo, 0, v6, vcc_lo
	s_add_u32 s4, s6, s8
	v_add_co_u32 v11, vcc_lo, 0x2000, v5
	s_addc_u32 s5, s7, s9
	v_add_co_u32 v14, s6, s4, v13
	v_add_co_ci_u32_e32 v12, vcc_lo, 0, v6, vcc_lo
	v_add_co_ci_u32_e64 v15, null, s5, 0, s6
	v_add_co_u32 v18, vcc_lo, 0x3000, v5
	v_add_co_ci_u32_e32 v19, vcc_lo, 0, v6, vcc_lo
	v_add_co_u32 v5, vcc_lo, 0x1000, v14
	s_delay_alu instid0(VALU_DEP_4)
	v_add_co_ci_u32_e32 v6, vcc_lo, 0, v15, vcc_lo
	s_clause 0x7
	global_load_b32 v20, v13, s[4:5]
	global_load_b32 v21, v13, s[4:5] offset:1024
	global_load_b32 v22, v13, s[4:5] offset:2048
	;; [unrolled: 1-line block ×3, first 2 shown]
	global_load_b32 v24, v[5:6], off
	global_load_b32 v25, v[5:6], off offset:1024
	global_load_b32 v26, v[5:6], off offset:2048
	;; [unrolled: 1-line block ×3, first 2 shown]
	s_clause 0x5
	global_load_b64 v[5:6], v[9:10], off offset:-4096
	global_load_b64 v[13:14], v[9:10], off
	global_load_b64 v[7:8], v[7:8], off offset:2048
	global_load_b64 v[15:16], v[11:12], off offset:2048
	global_load_b64 v[9:10], v[18:19], off
	global_load_b64 v[11:12], v[18:19], off offset:2048
	s_movk_i32 s4, 0x64
	s_waitcnt vmcnt(13)
	v_lshlrev_b32_e32 v18, 3, v20
	s_waitcnt vmcnt(12)
	v_lshlrev_b32_e32 v19, 3, v21
	;; [unrolled: 2-line block ×8, first 2 shown]
	.p2align	6
.LBB167_1:                              ; =>This Inner Loop Header: Depth=1
	ds_store_b64 v18, v[1:2]
	ds_store_b64 v19, v[3:4]
	s_waitcnt vmcnt(5)
	ds_store_b64 v20, v[5:6]
	s_waitcnt vmcnt(3)
	ds_store_b64 v21, v[7:8]
	ds_store_b64 v22, v[13:14]
	s_waitcnt vmcnt(2)
	ds_store_b64 v23, v[15:16]
	s_waitcnt vmcnt(1)
	;; [unrolled: 2-line block ×3, first 2 shown]
	ds_store_b64 v25, v[11:12]
	s_waitcnt lgkmcnt(0)
	s_barrier
	buffer_gl0_inv
	ds_load_2addr_stride64_b64 v[1:4], v17 offset1:4
	ds_load_2addr_stride64_b64 v[5:8], v17 offset0:8 offset1:12
	ds_load_2addr_stride64_b64 v[13:16], v17 offset0:16 offset1:20
	;; [unrolled: 1-line block ×3, first 2 shown]
	s_add_i32 s4, s4, -1
	s_waitcnt lgkmcnt(0)
	s_cmp_lg_u32 s4, 0
	s_barrier
	buffer_gl0_inv
	s_cbranch_scc1 .LBB167_1
; %bb.2:
	v_lshlrev_b32_e32 v0, 3, v0
	s_add_u32 s0, s0, s2
	s_addc_u32 s1, s1, s3
	s_delay_alu instid0(VALU_DEP_1) | instskip(NEXT) | instid1(VALU_DEP_1)
	v_add_co_u32 v23, s2, s0, v0
	v_add_co_ci_u32_e64 v24, null, s1, 0, s2
	s_delay_alu instid0(VALU_DEP_2) | instskip(NEXT) | instid1(VALU_DEP_2)
	v_add_co_u32 v17, vcc_lo, 0x1000, v23
	v_add_co_ci_u32_e32 v18, vcc_lo, 0, v24, vcc_lo
	v_add_co_u32 v19, vcc_lo, v23, 0x2000
	v_add_co_ci_u32_e32 v20, vcc_lo, 0, v24, vcc_lo
	v_add_co_u32 v21, vcc_lo, 0x2000, v23
	v_add_co_ci_u32_e32 v22, vcc_lo, 0, v24, vcc_lo
	global_store_b64 v[19:20], v[13:14], off
	v_add_co_u32 v13, vcc_lo, 0x3000, v23
	v_add_co_ci_u32_e32 v14, vcc_lo, 0, v24, vcc_lo
	s_clause 0x6
	global_store_b64 v0, v[1:2], s[0:1]
	global_store_b64 v0, v[3:4], s[0:1] offset:2048
	global_store_b64 v[17:18], v[7:8], off offset:2048
	global_store_b64 v[21:22], v[15:16], off offset:2048
	global_store_b64 v[13:14], v[9:10], off
	global_store_b64 v[19:20], v[5:6], off offset:-4096
	global_store_b64 v[13:14], v[11:12], off offset:2048
	s_nop 0
	s_sendmsg sendmsg(MSG_DEALLOC_VGPRS)
	s_endpgm
	.section	.rodata,"a",@progbits
	.p2align	6, 0x0
	.amdhsa_kernel _Z6kernelI18scatter_to_stripedxLj256ELj8ELj100EEvPKT0_PKjPS1_
		.amdhsa_group_segment_fixed_size 16896
		.amdhsa_private_segment_fixed_size 0
		.amdhsa_kernarg_size 24
		.amdhsa_user_sgpr_count 15
		.amdhsa_user_sgpr_dispatch_ptr 0
		.amdhsa_user_sgpr_queue_ptr 0
		.amdhsa_user_sgpr_kernarg_segment_ptr 1
		.amdhsa_user_sgpr_dispatch_id 0
		.amdhsa_user_sgpr_private_segment_size 0
		.amdhsa_wavefront_size32 1
		.amdhsa_uses_dynamic_stack 0
		.amdhsa_enable_private_segment 0
		.amdhsa_system_sgpr_workgroup_id_x 1
		.amdhsa_system_sgpr_workgroup_id_y 0
		.amdhsa_system_sgpr_workgroup_id_z 0
		.amdhsa_system_sgpr_workgroup_info 0
		.amdhsa_system_vgpr_workitem_id 0
		.amdhsa_next_free_vgpr 28
		.amdhsa_next_free_sgpr 16
		.amdhsa_reserve_vcc 1
		.amdhsa_float_round_mode_32 0
		.amdhsa_float_round_mode_16_64 0
		.amdhsa_float_denorm_mode_32 3
		.amdhsa_float_denorm_mode_16_64 3
		.amdhsa_dx10_clamp 1
		.amdhsa_ieee_mode 1
		.amdhsa_fp16_overflow 0
		.amdhsa_workgroup_processor_mode 1
		.amdhsa_memory_ordered 1
		.amdhsa_forward_progress 0
		.amdhsa_shared_vgpr_count 0
		.amdhsa_exception_fp_ieee_invalid_op 0
		.amdhsa_exception_fp_denorm_src 0
		.amdhsa_exception_fp_ieee_div_zero 0
		.amdhsa_exception_fp_ieee_overflow 0
		.amdhsa_exception_fp_ieee_underflow 0
		.amdhsa_exception_fp_ieee_inexact 0
		.amdhsa_exception_int_div_zero 0
	.end_amdhsa_kernel
	.section	.text._Z6kernelI18scatter_to_stripedxLj256ELj8ELj100EEvPKT0_PKjPS1_,"axG",@progbits,_Z6kernelI18scatter_to_stripedxLj256ELj8ELj100EEvPKT0_PKjPS1_,comdat
.Lfunc_end167:
	.size	_Z6kernelI18scatter_to_stripedxLj256ELj8ELj100EEvPKT0_PKjPS1_, .Lfunc_end167-_Z6kernelI18scatter_to_stripedxLj256ELj8ELj100EEvPKT0_PKjPS1_
                                        ; -- End function
	.section	.AMDGPU.csdata,"",@progbits
; Kernel info:
; codeLenInByte = 732
; NumSgprs: 18
; NumVgprs: 28
; ScratchSize: 0
; MemoryBound: 1
; FloatMode: 240
; IeeeMode: 1
; LDSByteSize: 16896 bytes/workgroup (compile time only)
; SGPRBlocks: 2
; VGPRBlocks: 3
; NumSGPRsForWavesPerEU: 18
; NumVGPRsForWavesPerEU: 28
; Occupancy: 14
; WaveLimiterHint : 1
; COMPUTE_PGM_RSRC2:SCRATCH_EN: 0
; COMPUTE_PGM_RSRC2:USER_SGPR: 15
; COMPUTE_PGM_RSRC2:TRAP_HANDLER: 0
; COMPUTE_PGM_RSRC2:TGID_X_EN: 1
; COMPUTE_PGM_RSRC2:TGID_Y_EN: 0
; COMPUTE_PGM_RSRC2:TGID_Z_EN: 0
; COMPUTE_PGM_RSRC2:TIDIG_COMP_CNT: 0
	.section	.text._Z6kernelI18scatter_to_stripedN15benchmark_utils11custom_typeIffEELj256ELj1ELj100EEvPKT0_PKjPS4_,"axG",@progbits,_Z6kernelI18scatter_to_stripedN15benchmark_utils11custom_typeIffEELj256ELj1ELj100EEvPKT0_PKjPS4_,comdat
	.protected	_Z6kernelI18scatter_to_stripedN15benchmark_utils11custom_typeIffEELj256ELj1ELj100EEvPKT0_PKjPS4_ ; -- Begin function _Z6kernelI18scatter_to_stripedN15benchmark_utils11custom_typeIffEELj256ELj1ELj100EEvPKT0_PKjPS4_
	.globl	_Z6kernelI18scatter_to_stripedN15benchmark_utils11custom_typeIffEELj256ELj1ELj100EEvPKT0_PKjPS4_
	.p2align	8
	.type	_Z6kernelI18scatter_to_stripedN15benchmark_utils11custom_typeIffEELj256ELj1ELj100EEvPKT0_PKjPS4_,@function
_Z6kernelI18scatter_to_stripedN15benchmark_utils11custom_typeIffEELj256ELj1ELj100EEvPKT0_PKjPS4_: ; @_Z6kernelI18scatter_to_stripedN15benchmark_utils11custom_typeIffEELj256ELj1ELj100EEvPKT0_PKjPS4_
; %bb.0:
	s_load_b128 s[4:7], s[0:1], 0x0
	s_mov_b32 s9, 0
	s_lshl_b32 s8, s15, 8
	v_lshlrev_b32_e32 v1, 2, v0
	s_lshl_b64 s[2:3], s[8:9], 3
	v_lshlrev_b32_e32 v3, 3, v0
	s_load_b64 s[0:1], s[0:1], 0x10
	s_waitcnt lgkmcnt(0)
	s_add_u32 s4, s4, s2
	s_addc_u32 s5, s5, s3
	s_lshl_b64 s[8:9], s[8:9], 2
	s_delay_alu instid0(SALU_CYCLE_1)
	s_add_u32 s6, s6, s8
	s_addc_u32 s7, s7, s9
	global_load_b32 v4, v1, s[6:7]
	global_load_b64 v[1:2], v3, s[4:5]
	s_movk_i32 s4, 0x64
	s_waitcnt vmcnt(1)
	v_lshlrev_b32_e32 v4, 3, v4
.LBB168_1:                              ; =>This Inner Loop Header: Depth=1
	s_waitcnt vmcnt(0)
	ds_store_b64 v4, v[1:2]
	s_waitcnt lgkmcnt(0)
	s_barrier
	buffer_gl0_inv
	ds_load_b64 v[1:2], v3
	s_add_i32 s4, s4, -1
	s_waitcnt lgkmcnt(0)
	s_cmp_lg_u32 s4, 0
	s_barrier
	buffer_gl0_inv
	s_cbranch_scc1 .LBB168_1
; %bb.2:
	v_lshlrev_b32_e32 v0, 3, v0
	s_add_u32 s0, s0, s2
	s_addc_u32 s1, s1, s3
	global_store_b64 v0, v[1:2], s[0:1]
	s_nop 0
	s_sendmsg sendmsg(MSG_DEALLOC_VGPRS)
	s_endpgm
	.section	.rodata,"a",@progbits
	.p2align	6, 0x0
	.amdhsa_kernel _Z6kernelI18scatter_to_stripedN15benchmark_utils11custom_typeIffEELj256ELj1ELj100EEvPKT0_PKjPS4_
		.amdhsa_group_segment_fixed_size 2048
		.amdhsa_private_segment_fixed_size 0
		.amdhsa_kernarg_size 24
		.amdhsa_user_sgpr_count 15
		.amdhsa_user_sgpr_dispatch_ptr 0
		.amdhsa_user_sgpr_queue_ptr 0
		.amdhsa_user_sgpr_kernarg_segment_ptr 1
		.amdhsa_user_sgpr_dispatch_id 0
		.amdhsa_user_sgpr_private_segment_size 0
		.amdhsa_wavefront_size32 1
		.amdhsa_uses_dynamic_stack 0
		.amdhsa_enable_private_segment 0
		.amdhsa_system_sgpr_workgroup_id_x 1
		.amdhsa_system_sgpr_workgroup_id_y 0
		.amdhsa_system_sgpr_workgroup_id_z 0
		.amdhsa_system_sgpr_workgroup_info 0
		.amdhsa_system_vgpr_workitem_id 0
		.amdhsa_next_free_vgpr 5
		.amdhsa_next_free_sgpr 16
		.amdhsa_reserve_vcc 0
		.amdhsa_float_round_mode_32 0
		.amdhsa_float_round_mode_16_64 0
		.amdhsa_float_denorm_mode_32 3
		.amdhsa_float_denorm_mode_16_64 3
		.amdhsa_dx10_clamp 1
		.amdhsa_ieee_mode 1
		.amdhsa_fp16_overflow 0
		.amdhsa_workgroup_processor_mode 1
		.amdhsa_memory_ordered 1
		.amdhsa_forward_progress 0
		.amdhsa_shared_vgpr_count 0
		.amdhsa_exception_fp_ieee_invalid_op 0
		.amdhsa_exception_fp_denorm_src 0
		.amdhsa_exception_fp_ieee_div_zero 0
		.amdhsa_exception_fp_ieee_overflow 0
		.amdhsa_exception_fp_ieee_underflow 0
		.amdhsa_exception_fp_ieee_inexact 0
		.amdhsa_exception_int_div_zero 0
	.end_amdhsa_kernel
	.section	.text._Z6kernelI18scatter_to_stripedN15benchmark_utils11custom_typeIffEELj256ELj1ELj100EEvPKT0_PKjPS4_,"axG",@progbits,_Z6kernelI18scatter_to_stripedN15benchmark_utils11custom_typeIffEELj256ELj1ELj100EEvPKT0_PKjPS4_,comdat
.Lfunc_end168:
	.size	_Z6kernelI18scatter_to_stripedN15benchmark_utils11custom_typeIffEELj256ELj1ELj100EEvPKT0_PKjPS4_, .Lfunc_end168-_Z6kernelI18scatter_to_stripedN15benchmark_utils11custom_typeIffEELj256ELj1ELj100EEvPKT0_PKjPS4_
                                        ; -- End function
	.section	.AMDGPU.csdata,"",@progbits
; Kernel info:
; codeLenInByte = 188
; NumSgprs: 16
; NumVgprs: 5
; ScratchSize: 0
; MemoryBound: 0
; FloatMode: 240
; IeeeMode: 1
; LDSByteSize: 2048 bytes/workgroup (compile time only)
; SGPRBlocks: 1
; VGPRBlocks: 0
; NumSGPRsForWavesPerEU: 16
; NumVGPRsForWavesPerEU: 5
; Occupancy: 16
; WaveLimiterHint : 0
; COMPUTE_PGM_RSRC2:SCRATCH_EN: 0
; COMPUTE_PGM_RSRC2:USER_SGPR: 15
; COMPUTE_PGM_RSRC2:TRAP_HANDLER: 0
; COMPUTE_PGM_RSRC2:TGID_X_EN: 1
; COMPUTE_PGM_RSRC2:TGID_Y_EN: 0
; COMPUTE_PGM_RSRC2:TGID_Z_EN: 0
; COMPUTE_PGM_RSRC2:TIDIG_COMP_CNT: 0
	.section	.text._Z6kernelI18scatter_to_stripedN15benchmark_utils11custom_typeIffEELj256ELj2ELj100EEvPKT0_PKjPS4_,"axG",@progbits,_Z6kernelI18scatter_to_stripedN15benchmark_utils11custom_typeIffEELj256ELj2ELj100EEvPKT0_PKjPS4_,comdat
	.protected	_Z6kernelI18scatter_to_stripedN15benchmark_utils11custom_typeIffEELj256ELj2ELj100EEvPKT0_PKjPS4_ ; -- Begin function _Z6kernelI18scatter_to_stripedN15benchmark_utils11custom_typeIffEELj256ELj2ELj100EEvPKT0_PKjPS4_
	.globl	_Z6kernelI18scatter_to_stripedN15benchmark_utils11custom_typeIffEELj256ELj2ELj100EEvPKT0_PKjPS4_
	.p2align	8
	.type	_Z6kernelI18scatter_to_stripedN15benchmark_utils11custom_typeIffEELj256ELj2ELj100EEvPKT0_PKjPS4_,@function
_Z6kernelI18scatter_to_stripedN15benchmark_utils11custom_typeIffEELj256ELj2ELj100EEvPKT0_PKjPS4_: ; @_Z6kernelI18scatter_to_stripedN15benchmark_utils11custom_typeIffEELj256ELj2ELj100EEvPKT0_PKjPS4_
; %bb.0:
	s_load_b128 s[4:7], s[0:1], 0x0
	s_mov_b32 s9, 0
	s_lshl_b32 s8, s15, 9
	v_lshlrev_b32_e32 v1, 2, v0
	s_lshl_b64 s[2:3], s[8:9], 3
	v_lshlrev_b32_e32 v5, 3, v0
	s_load_b64 s[0:1], s[0:1], 0x10
	s_waitcnt lgkmcnt(0)
	s_add_u32 s4, s4, s2
	s_addc_u32 s5, s5, s3
	s_lshl_b64 s[8:9], s[8:9], 2
	s_delay_alu instid0(SALU_CYCLE_1)
	s_add_u32 s6, s6, s8
	s_addc_u32 s7, s7, s9
	s_clause 0x1
	global_load_b32 v6, v1, s[6:7]
	global_load_b32 v7, v1, s[6:7] offset:1024
	s_clause 0x1
	global_load_b64 v[1:2], v5, s[4:5]
	global_load_b64 v[3:4], v5, s[4:5] offset:2048
	s_movk_i32 s4, 0x64
	s_waitcnt vmcnt(3)
	v_lshlrev_b32_e32 v6, 3, v6
	s_waitcnt vmcnt(2)
	v_lshlrev_b32_e32 v7, 3, v7
.LBB169_1:                              ; =>This Inner Loop Header: Depth=1
	s_waitcnt vmcnt(1)
	ds_store_b64 v6, v[1:2]
	s_waitcnt vmcnt(0)
	ds_store_b64 v7, v[3:4]
	s_waitcnt lgkmcnt(0)
	s_barrier
	buffer_gl0_inv
	ds_load_2addr_stride64_b64 v[1:4], v5 offset1:4
	s_add_i32 s4, s4, -1
	s_waitcnt lgkmcnt(0)
	s_cmp_lg_u32 s4, 0
	s_barrier
	buffer_gl0_inv
	s_cbranch_scc1 .LBB169_1
; %bb.2:
	v_lshlrev_b32_e32 v0, 3, v0
	s_add_u32 s0, s0, s2
	s_addc_u32 s1, s1, s3
	s_clause 0x1
	global_store_b64 v0, v[1:2], s[0:1]
	global_store_b64 v0, v[3:4], s[0:1] offset:2048
	s_nop 0
	s_sendmsg sendmsg(MSG_DEALLOC_VGPRS)
	s_endpgm
	.section	.rodata,"a",@progbits
	.p2align	6, 0x0
	.amdhsa_kernel _Z6kernelI18scatter_to_stripedN15benchmark_utils11custom_typeIffEELj256ELj2ELj100EEvPKT0_PKjPS4_
		.amdhsa_group_segment_fixed_size 4224
		.amdhsa_private_segment_fixed_size 0
		.amdhsa_kernarg_size 24
		.amdhsa_user_sgpr_count 15
		.amdhsa_user_sgpr_dispatch_ptr 0
		.amdhsa_user_sgpr_queue_ptr 0
		.amdhsa_user_sgpr_kernarg_segment_ptr 1
		.amdhsa_user_sgpr_dispatch_id 0
		.amdhsa_user_sgpr_private_segment_size 0
		.amdhsa_wavefront_size32 1
		.amdhsa_uses_dynamic_stack 0
		.amdhsa_enable_private_segment 0
		.amdhsa_system_sgpr_workgroup_id_x 1
		.amdhsa_system_sgpr_workgroup_id_y 0
		.amdhsa_system_sgpr_workgroup_id_z 0
		.amdhsa_system_sgpr_workgroup_info 0
		.amdhsa_system_vgpr_workitem_id 0
		.amdhsa_next_free_vgpr 8
		.amdhsa_next_free_sgpr 16
		.amdhsa_reserve_vcc 0
		.amdhsa_float_round_mode_32 0
		.amdhsa_float_round_mode_16_64 0
		.amdhsa_float_denorm_mode_32 3
		.amdhsa_float_denorm_mode_16_64 3
		.amdhsa_dx10_clamp 1
		.amdhsa_ieee_mode 1
		.amdhsa_fp16_overflow 0
		.amdhsa_workgroup_processor_mode 1
		.amdhsa_memory_ordered 1
		.amdhsa_forward_progress 0
		.amdhsa_shared_vgpr_count 0
		.amdhsa_exception_fp_ieee_invalid_op 0
		.amdhsa_exception_fp_denorm_src 0
		.amdhsa_exception_fp_ieee_div_zero 0
		.amdhsa_exception_fp_ieee_overflow 0
		.amdhsa_exception_fp_ieee_underflow 0
		.amdhsa_exception_fp_ieee_inexact 0
		.amdhsa_exception_int_div_zero 0
	.end_amdhsa_kernel
	.section	.text._Z6kernelI18scatter_to_stripedN15benchmark_utils11custom_typeIffEELj256ELj2ELj100EEvPKT0_PKjPS4_,"axG",@progbits,_Z6kernelI18scatter_to_stripedN15benchmark_utils11custom_typeIffEELj256ELj2ELj100EEvPKT0_PKjPS4_,comdat
.Lfunc_end169:
	.size	_Z6kernelI18scatter_to_stripedN15benchmark_utils11custom_typeIffEELj256ELj2ELj100EEvPKT0_PKjPS4_, .Lfunc_end169-_Z6kernelI18scatter_to_stripedN15benchmark_utils11custom_typeIffEELj256ELj2ELj100EEvPKT0_PKjPS4_
                                        ; -- End function
	.section	.AMDGPU.csdata,"",@progbits
; Kernel info:
; codeLenInByte = 244
; NumSgprs: 16
; NumVgprs: 8
; ScratchSize: 0
; MemoryBound: 0
; FloatMode: 240
; IeeeMode: 1
; LDSByteSize: 4224 bytes/workgroup (compile time only)
; SGPRBlocks: 1
; VGPRBlocks: 0
; NumSGPRsForWavesPerEU: 16
; NumVGPRsForWavesPerEU: 8
; Occupancy: 16
; WaveLimiterHint : 1
; COMPUTE_PGM_RSRC2:SCRATCH_EN: 0
; COMPUTE_PGM_RSRC2:USER_SGPR: 15
; COMPUTE_PGM_RSRC2:TRAP_HANDLER: 0
; COMPUTE_PGM_RSRC2:TGID_X_EN: 1
; COMPUTE_PGM_RSRC2:TGID_Y_EN: 0
; COMPUTE_PGM_RSRC2:TGID_Z_EN: 0
; COMPUTE_PGM_RSRC2:TIDIG_COMP_CNT: 0
	.section	.text._Z6kernelI18scatter_to_stripedN15benchmark_utils11custom_typeIffEELj256ELj3ELj100EEvPKT0_PKjPS4_,"axG",@progbits,_Z6kernelI18scatter_to_stripedN15benchmark_utils11custom_typeIffEELj256ELj3ELj100EEvPKT0_PKjPS4_,comdat
	.protected	_Z6kernelI18scatter_to_stripedN15benchmark_utils11custom_typeIffEELj256ELj3ELj100EEvPKT0_PKjPS4_ ; -- Begin function _Z6kernelI18scatter_to_stripedN15benchmark_utils11custom_typeIffEELj256ELj3ELj100EEvPKT0_PKjPS4_
	.globl	_Z6kernelI18scatter_to_stripedN15benchmark_utils11custom_typeIffEELj256ELj3ELj100EEvPKT0_PKjPS4_
	.p2align	8
	.type	_Z6kernelI18scatter_to_stripedN15benchmark_utils11custom_typeIffEELj256ELj3ELj100EEvPKT0_PKjPS4_,@function
_Z6kernelI18scatter_to_stripedN15benchmark_utils11custom_typeIffEELj256ELj3ELj100EEvPKT0_PKjPS4_: ; @_Z6kernelI18scatter_to_stripedN15benchmark_utils11custom_typeIffEELj256ELj3ELj100EEvPKT0_PKjPS4_
; %bb.0:
	s_load_b128 s[4:7], s[0:1], 0x0
	s_mov_b32 s9, 0
	s_mul_i32 s8, s15, 0x300
	v_lshlrev_b32_e32 v7, 3, v0
	s_lshl_b64 s[2:3], s[8:9], 3
	v_lshlrev_b32_e32 v1, 2, v0
	s_load_b64 s[0:1], s[0:1], 0x10
	s_waitcnt lgkmcnt(0)
	s_add_u32 s4, s4, s2
	s_addc_u32 s5, s5, s3
	v_add_co_u32 v2, s10, s4, v7
	s_delay_alu instid0(VALU_DEP_1) | instskip(SKIP_1) | instid1(VALU_DEP_2)
	v_add_co_ci_u32_e64 v3, null, s5, 0, s10
	s_lshl_b64 s[8:9], s[8:9], 2
	v_add_co_u32 v5, vcc_lo, 0x1000, v2
	s_add_u32 s6, s6, s8
	s_addc_u32 s7, s7, s9
	v_add_co_ci_u32_e32 v6, vcc_lo, 0, v3, vcc_lo
	s_clause 0x2
	global_load_b32 v8, v1, s[6:7]
	global_load_b32 v9, v1, s[6:7] offset:1024
	global_load_b32 v10, v1, s[6:7] offset:2048
	s_clause 0x2
	global_load_b64 v[1:2], v7, s[4:5]
	global_load_b64 v[3:4], v7, s[4:5] offset:2048
	global_load_b64 v[5:6], v[5:6], off
	s_movk_i32 s4, 0x64
	s_waitcnt vmcnt(5)
	v_lshlrev_b32_e32 v8, 3, v8
	s_waitcnt vmcnt(4)
	v_lshlrev_b32_e32 v9, 3, v9
	;; [unrolled: 2-line block ×3, first 2 shown]
.LBB170_1:                              ; =>This Inner Loop Header: Depth=1
	s_waitcnt vmcnt(2)
	ds_store_b64 v8, v[1:2]
	s_waitcnt vmcnt(1)
	ds_store_b64 v9, v[3:4]
	;; [unrolled: 2-line block ×3, first 2 shown]
	s_waitcnt lgkmcnt(0)
	s_barrier
	buffer_gl0_inv
	ds_load_2addr_stride64_b64 v[1:4], v7 offset1:4
	ds_load_b64 v[5:6], v7 offset:4096
	s_add_i32 s4, s4, -1
	s_waitcnt lgkmcnt(0)
	s_cmp_lg_u32 s4, 0
	s_barrier
	buffer_gl0_inv
	s_cbranch_scc1 .LBB170_1
; %bb.2:
	v_lshlrev_b32_e32 v0, 3, v0
	s_add_u32 s0, s0, s2
	s_addc_u32 s1, s1, s3
	s_delay_alu instid0(VALU_DEP_1) | instskip(NEXT) | instid1(VALU_DEP_1)
	v_add_co_u32 v7, s2, s0, v0
	v_add_co_ci_u32_e64 v8, null, s1, 0, s2
	s_delay_alu instid0(VALU_DEP_2) | instskip(NEXT) | instid1(VALU_DEP_2)
	v_add_co_u32 v7, vcc_lo, 0x1000, v7
	v_add_co_ci_u32_e32 v8, vcc_lo, 0, v8, vcc_lo
	s_clause 0x2
	global_store_b64 v0, v[1:2], s[0:1]
	global_store_b64 v0, v[3:4], s[0:1] offset:2048
	global_store_b64 v[7:8], v[5:6], off
	s_nop 0
	s_sendmsg sendmsg(MSG_DEALLOC_VGPRS)
	s_endpgm
	.section	.rodata,"a",@progbits
	.p2align	6, 0x0
	.amdhsa_kernel _Z6kernelI18scatter_to_stripedN15benchmark_utils11custom_typeIffEELj256ELj3ELj100EEvPKT0_PKjPS4_
		.amdhsa_group_segment_fixed_size 6144
		.amdhsa_private_segment_fixed_size 0
		.amdhsa_kernarg_size 24
		.amdhsa_user_sgpr_count 15
		.amdhsa_user_sgpr_dispatch_ptr 0
		.amdhsa_user_sgpr_queue_ptr 0
		.amdhsa_user_sgpr_kernarg_segment_ptr 1
		.amdhsa_user_sgpr_dispatch_id 0
		.amdhsa_user_sgpr_private_segment_size 0
		.amdhsa_wavefront_size32 1
		.amdhsa_uses_dynamic_stack 0
		.amdhsa_enable_private_segment 0
		.amdhsa_system_sgpr_workgroup_id_x 1
		.amdhsa_system_sgpr_workgroup_id_y 0
		.amdhsa_system_sgpr_workgroup_id_z 0
		.amdhsa_system_sgpr_workgroup_info 0
		.amdhsa_system_vgpr_workitem_id 0
		.amdhsa_next_free_vgpr 11
		.amdhsa_next_free_sgpr 16
		.amdhsa_reserve_vcc 1
		.amdhsa_float_round_mode_32 0
		.amdhsa_float_round_mode_16_64 0
		.amdhsa_float_denorm_mode_32 3
		.amdhsa_float_denorm_mode_16_64 3
		.amdhsa_dx10_clamp 1
		.amdhsa_ieee_mode 1
		.amdhsa_fp16_overflow 0
		.amdhsa_workgroup_processor_mode 1
		.amdhsa_memory_ordered 1
		.amdhsa_forward_progress 0
		.amdhsa_shared_vgpr_count 0
		.amdhsa_exception_fp_ieee_invalid_op 0
		.amdhsa_exception_fp_denorm_src 0
		.amdhsa_exception_fp_ieee_div_zero 0
		.amdhsa_exception_fp_ieee_overflow 0
		.amdhsa_exception_fp_ieee_underflow 0
		.amdhsa_exception_fp_ieee_inexact 0
		.amdhsa_exception_int_div_zero 0
	.end_amdhsa_kernel
	.section	.text._Z6kernelI18scatter_to_stripedN15benchmark_utils11custom_typeIffEELj256ELj3ELj100EEvPKT0_PKjPS4_,"axG",@progbits,_Z6kernelI18scatter_to_stripedN15benchmark_utils11custom_typeIffEELj256ELj3ELj100EEvPKT0_PKjPS4_,comdat
.Lfunc_end170:
	.size	_Z6kernelI18scatter_to_stripedN15benchmark_utils11custom_typeIffEELj256ELj3ELj100EEvPKT0_PKjPS4_, .Lfunc_end170-_Z6kernelI18scatter_to_stripedN15benchmark_utils11custom_typeIffEELj256ELj3ELj100EEvPKT0_PKjPS4_
                                        ; -- End function
	.section	.AMDGPU.csdata,"",@progbits
; Kernel info:
; codeLenInByte = 372
; NumSgprs: 18
; NumVgprs: 11
; ScratchSize: 0
; MemoryBound: 0
; FloatMode: 240
; IeeeMode: 1
; LDSByteSize: 6144 bytes/workgroup (compile time only)
; SGPRBlocks: 2
; VGPRBlocks: 1
; NumSGPRsForWavesPerEU: 18
; NumVGPRsForWavesPerEU: 11
; Occupancy: 16
; WaveLimiterHint : 1
; COMPUTE_PGM_RSRC2:SCRATCH_EN: 0
; COMPUTE_PGM_RSRC2:USER_SGPR: 15
; COMPUTE_PGM_RSRC2:TRAP_HANDLER: 0
; COMPUTE_PGM_RSRC2:TGID_X_EN: 1
; COMPUTE_PGM_RSRC2:TGID_Y_EN: 0
; COMPUTE_PGM_RSRC2:TGID_Z_EN: 0
; COMPUTE_PGM_RSRC2:TIDIG_COMP_CNT: 0
	.section	.text._Z6kernelI18scatter_to_stripedN15benchmark_utils11custom_typeIffEELj256ELj4ELj100EEvPKT0_PKjPS4_,"axG",@progbits,_Z6kernelI18scatter_to_stripedN15benchmark_utils11custom_typeIffEELj256ELj4ELj100EEvPKT0_PKjPS4_,comdat
	.protected	_Z6kernelI18scatter_to_stripedN15benchmark_utils11custom_typeIffEELj256ELj4ELj100EEvPKT0_PKjPS4_ ; -- Begin function _Z6kernelI18scatter_to_stripedN15benchmark_utils11custom_typeIffEELj256ELj4ELj100EEvPKT0_PKjPS4_
	.globl	_Z6kernelI18scatter_to_stripedN15benchmark_utils11custom_typeIffEELj256ELj4ELj100EEvPKT0_PKjPS4_
	.p2align	8
	.type	_Z6kernelI18scatter_to_stripedN15benchmark_utils11custom_typeIffEELj256ELj4ELj100EEvPKT0_PKjPS4_,@function
_Z6kernelI18scatter_to_stripedN15benchmark_utils11custom_typeIffEELj256ELj4ELj100EEvPKT0_PKjPS4_: ; @_Z6kernelI18scatter_to_stripedN15benchmark_utils11custom_typeIffEELj256ELj4ELj100EEvPKT0_PKjPS4_
; %bb.0:
	s_load_b128 s[4:7], s[0:1], 0x0
	s_mov_b32 s9, 0
	s_lshl_b32 s8, s15, 10
	v_lshlrev_b32_e32 v9, 3, v0
	s_lshl_b64 s[2:3], s[8:9], 3
	v_lshlrev_b32_e32 v1, 2, v0
	s_load_b64 s[0:1], s[0:1], 0x10
	s_waitcnt lgkmcnt(0)
	s_add_u32 s4, s4, s2
	s_addc_u32 s5, s5, s3
	v_add_co_u32 v2, s10, s4, v9
	s_delay_alu instid0(VALU_DEP_1) | instskip(SKIP_1) | instid1(VALU_DEP_2)
	v_add_co_ci_u32_e64 v4, null, s5, 0, s10
	s_lshl_b64 s[8:9], s[8:9], 2
	v_add_co_u32 v3, vcc_lo, 0x1000, v2
	s_add_u32 s6, s6, s8
	s_addc_u32 s7, s7, s9
	v_add_co_ci_u32_e32 v4, vcc_lo, 0, v4, vcc_lo
	s_clause 0x3
	global_load_b32 v10, v1, s[6:7]
	global_load_b32 v11, v1, s[6:7] offset:1024
	global_load_b32 v12, v1, s[6:7] offset:2048
	;; [unrolled: 1-line block ×3, first 2 shown]
	s_clause 0x3
	global_load_b64 v[5:6], v9, s[4:5]
	global_load_b64 v[7:8], v9, s[4:5] offset:2048
	global_load_b64 v[1:2], v[3:4], off
	global_load_b64 v[3:4], v[3:4], off offset:2048
	s_movk_i32 s4, 0x64
	s_waitcnt vmcnt(7)
	v_lshlrev_b32_e32 v10, 3, v10
	s_waitcnt vmcnt(6)
	v_lshlrev_b32_e32 v11, 3, v11
	;; [unrolled: 2-line block ×4, first 2 shown]
	.p2align	6
.LBB171_1:                              ; =>This Inner Loop Header: Depth=1
	s_waitcnt vmcnt(3)
	ds_store_b64 v10, v[5:6]
	s_waitcnt vmcnt(2)
	ds_store_b64 v11, v[7:8]
	;; [unrolled: 2-line block ×4, first 2 shown]
	s_waitcnt lgkmcnt(0)
	s_barrier
	buffer_gl0_inv
	ds_load_2addr_stride64_b64 v[5:8], v9 offset1:4
	ds_load_2addr_stride64_b64 v[1:4], v9 offset0:8 offset1:12
	s_add_i32 s4, s4, -1
	s_waitcnt lgkmcnt(0)
	s_cmp_lg_u32 s4, 0
	s_barrier
	buffer_gl0_inv
	s_cbranch_scc1 .LBB171_1
; %bb.2:
	v_lshlrev_b32_e32 v0, 3, v0
	s_add_u32 s0, s0, s2
	s_addc_u32 s1, s1, s3
	s_delay_alu instid0(VALU_DEP_1) | instskip(NEXT) | instid1(VALU_DEP_1)
	v_add_co_u32 v9, s2, s0, v0
	v_add_co_ci_u32_e64 v10, null, s1, 0, s2
	s_delay_alu instid0(VALU_DEP_2) | instskip(NEXT) | instid1(VALU_DEP_2)
	v_add_co_u32 v9, vcc_lo, 0x1000, v9
	v_add_co_ci_u32_e32 v10, vcc_lo, 0, v10, vcc_lo
	s_clause 0x3
	global_store_b64 v0, v[5:6], s[0:1]
	global_store_b64 v0, v[7:8], s[0:1] offset:2048
	global_store_b64 v[9:10], v[1:2], off
	global_store_b64 v[9:10], v[3:4], off offset:2048
	s_nop 0
	s_sendmsg sendmsg(MSG_DEALLOC_VGPRS)
	s_endpgm
	.section	.rodata,"a",@progbits
	.p2align	6, 0x0
	.amdhsa_kernel _Z6kernelI18scatter_to_stripedN15benchmark_utils11custom_typeIffEELj256ELj4ELj100EEvPKT0_PKjPS4_
		.amdhsa_group_segment_fixed_size 8448
		.amdhsa_private_segment_fixed_size 0
		.amdhsa_kernarg_size 24
		.amdhsa_user_sgpr_count 15
		.amdhsa_user_sgpr_dispatch_ptr 0
		.amdhsa_user_sgpr_queue_ptr 0
		.amdhsa_user_sgpr_kernarg_segment_ptr 1
		.amdhsa_user_sgpr_dispatch_id 0
		.amdhsa_user_sgpr_private_segment_size 0
		.amdhsa_wavefront_size32 1
		.amdhsa_uses_dynamic_stack 0
		.amdhsa_enable_private_segment 0
		.amdhsa_system_sgpr_workgroup_id_x 1
		.amdhsa_system_sgpr_workgroup_id_y 0
		.amdhsa_system_sgpr_workgroup_id_z 0
		.amdhsa_system_sgpr_workgroup_info 0
		.amdhsa_system_vgpr_workitem_id 0
		.amdhsa_next_free_vgpr 14
		.amdhsa_next_free_sgpr 16
		.amdhsa_reserve_vcc 1
		.amdhsa_float_round_mode_32 0
		.amdhsa_float_round_mode_16_64 0
		.amdhsa_float_denorm_mode_32 3
		.amdhsa_float_denorm_mode_16_64 3
		.amdhsa_dx10_clamp 1
		.amdhsa_ieee_mode 1
		.amdhsa_fp16_overflow 0
		.amdhsa_workgroup_processor_mode 1
		.amdhsa_memory_ordered 1
		.amdhsa_forward_progress 0
		.amdhsa_shared_vgpr_count 0
		.amdhsa_exception_fp_ieee_invalid_op 0
		.amdhsa_exception_fp_denorm_src 0
		.amdhsa_exception_fp_ieee_div_zero 0
		.amdhsa_exception_fp_ieee_overflow 0
		.amdhsa_exception_fp_ieee_underflow 0
		.amdhsa_exception_fp_ieee_inexact 0
		.amdhsa_exception_int_div_zero 0
	.end_amdhsa_kernel
	.section	.text._Z6kernelI18scatter_to_stripedN15benchmark_utils11custom_typeIffEELj256ELj4ELj100EEvPKT0_PKjPS4_,"axG",@progbits,_Z6kernelI18scatter_to_stripedN15benchmark_utils11custom_typeIffEELj256ELj4ELj100EEvPKT0_PKjPS4_,comdat
.Lfunc_end171:
	.size	_Z6kernelI18scatter_to_stripedN15benchmark_utils11custom_typeIffEELj256ELj4ELj100EEvPKT0_PKjPS4_, .Lfunc_end171-_Z6kernelI18scatter_to_stripedN15benchmark_utils11custom_typeIffEELj256ELj4ELj100EEvPKT0_PKjPS4_
                                        ; -- End function
	.section	.AMDGPU.csdata,"",@progbits
; Kernel info:
; codeLenInByte = 412
; NumSgprs: 18
; NumVgprs: 14
; ScratchSize: 0
; MemoryBound: 0
; FloatMode: 240
; IeeeMode: 1
; LDSByteSize: 8448 bytes/workgroup (compile time only)
; SGPRBlocks: 2
; VGPRBlocks: 1
; NumSGPRsForWavesPerEU: 18
; NumVGPRsForWavesPerEU: 14
; Occupancy: 16
; WaveLimiterHint : 1
; COMPUTE_PGM_RSRC2:SCRATCH_EN: 0
; COMPUTE_PGM_RSRC2:USER_SGPR: 15
; COMPUTE_PGM_RSRC2:TRAP_HANDLER: 0
; COMPUTE_PGM_RSRC2:TGID_X_EN: 1
; COMPUTE_PGM_RSRC2:TGID_Y_EN: 0
; COMPUTE_PGM_RSRC2:TGID_Z_EN: 0
; COMPUTE_PGM_RSRC2:TIDIG_COMP_CNT: 0
	.section	.text._Z6kernelI18scatter_to_stripedN15benchmark_utils11custom_typeIffEELj256ELj7ELj100EEvPKT0_PKjPS4_,"axG",@progbits,_Z6kernelI18scatter_to_stripedN15benchmark_utils11custom_typeIffEELj256ELj7ELj100EEvPKT0_PKjPS4_,comdat
	.protected	_Z6kernelI18scatter_to_stripedN15benchmark_utils11custom_typeIffEELj256ELj7ELj100EEvPKT0_PKjPS4_ ; -- Begin function _Z6kernelI18scatter_to_stripedN15benchmark_utils11custom_typeIffEELj256ELj7ELj100EEvPKT0_PKjPS4_
	.globl	_Z6kernelI18scatter_to_stripedN15benchmark_utils11custom_typeIffEELj256ELj7ELj100EEvPKT0_PKjPS4_
	.p2align	8
	.type	_Z6kernelI18scatter_to_stripedN15benchmark_utils11custom_typeIffEELj256ELj7ELj100EEvPKT0_PKjPS4_,@function
_Z6kernelI18scatter_to_stripedN15benchmark_utils11custom_typeIffEELj256ELj7ELj100EEvPKT0_PKjPS4_: ; @_Z6kernelI18scatter_to_stripedN15benchmark_utils11custom_typeIffEELj256ELj7ELj100EEvPKT0_PKjPS4_
; %bb.0:
	s_load_b128 s[4:7], s[0:1], 0x0
	s_mov_b32 s9, 0
	s_mul_i32 s8, s15, 0x700
	v_lshlrev_b32_e32 v15, 3, v0
	s_lshl_b64 s[2:3], s[8:9], 3
	v_lshlrev_b32_e32 v16, 2, v0
	s_load_b64 s[0:1], s[0:1], 0x10
	s_waitcnt lgkmcnt(0)
	s_add_u32 s4, s4, s2
	s_addc_u32 s5, s5, s3
	v_add_co_u32 v5, s10, s4, v15
	s_delay_alu instid0(VALU_DEP_1) | instskip(SKIP_1) | instid1(VALU_DEP_2)
	v_add_co_ci_u32_e64 v6, null, s5, 0, s10
	s_lshl_b64 s[8:9], s[8:9], 2
	v_add_co_u32 v7, vcc_lo, 0x1000, v5
	s_delay_alu instid0(VALU_DEP_2)
	v_add_co_ci_u32_e32 v8, vcc_lo, 0, v6, vcc_lo
	v_add_co_u32 v9, vcc_lo, v5, 0x2000
	s_clause 0x1
	global_load_b64 v[1:2], v15, s[4:5]
	global_load_b64 v[3:4], v15, s[4:5] offset:2048
	v_add_co_ci_u32_e32 v10, vcc_lo, 0, v6, vcc_lo
	s_add_u32 s4, s6, s8
	v_add_co_u32 v11, vcc_lo, 0x2000, v5
	s_addc_u32 s5, s7, s9
	v_add_co_u32 v17, s6, s4, v16
	v_add_co_ci_u32_e32 v12, vcc_lo, 0, v6, vcc_lo
	v_add_co_ci_u32_e64 v18, null, s5, 0, s6
	v_add_co_u32 v13, vcc_lo, 0x3000, v5
	v_add_co_ci_u32_e32 v14, vcc_lo, 0, v6, vcc_lo
	v_add_co_u32 v5, vcc_lo, 0x1000, v17
	s_delay_alu instid0(VALU_DEP_4)
	v_add_co_ci_u32_e32 v6, vcc_lo, 0, v18, vcc_lo
	s_clause 0x6
	global_load_b32 v17, v16, s[4:5]
	global_load_b32 v18, v16, s[4:5] offset:1024
	global_load_b32 v19, v16, s[4:5] offset:2048
	;; [unrolled: 1-line block ×3, first 2 shown]
	global_load_b32 v21, v[5:6], off
	global_load_b32 v22, v[5:6], off offset:1024
	global_load_b32 v23, v[5:6], off offset:2048
	s_clause 0x4
	global_load_b64 v[5:6], v[9:10], off offset:-4096
	global_load_b64 v[9:10], v[9:10], off
	global_load_b64 v[7:8], v[7:8], off offset:2048
	global_load_b64 v[11:12], v[11:12], off offset:2048
	global_load_b64 v[13:14], v[13:14], off
	s_movk_i32 s4, 0x64
	s_waitcnt vmcnt(11)
	v_lshlrev_b32_e32 v16, 3, v17
	s_waitcnt vmcnt(10)
	v_lshlrev_b32_e32 v17, 3, v18
	s_waitcnt vmcnt(9)
	v_lshlrev_b32_e32 v18, 3, v19
	s_waitcnt vmcnt(8)
	v_lshlrev_b32_e32 v19, 3, v20
	s_waitcnt vmcnt(7)
	v_lshlrev_b32_e32 v20, 3, v21
	s_waitcnt vmcnt(6)
	v_lshlrev_b32_e32 v21, 3, v22
	s_waitcnt vmcnt(5)
	v_lshlrev_b32_e32 v22, 3, v23
	.p2align	6
.LBB172_1:                              ; =>This Inner Loop Header: Depth=1
	ds_store_b64 v16, v[1:2]
	ds_store_b64 v17, v[3:4]
	s_waitcnt vmcnt(4)
	ds_store_b64 v18, v[5:6]
	s_waitcnt vmcnt(2)
	ds_store_b64 v19, v[7:8]
	ds_store_b64 v20, v[9:10]
	s_waitcnt vmcnt(1)
	ds_store_b64 v21, v[11:12]
	s_waitcnt vmcnt(0)
	ds_store_b64 v22, v[13:14]
	s_waitcnt lgkmcnt(0)
	s_barrier
	buffer_gl0_inv
	ds_load_2addr_stride64_b64 v[1:4], v15 offset1:4
	ds_load_2addr_stride64_b64 v[5:8], v15 offset0:8 offset1:12
	ds_load_2addr_stride64_b64 v[9:12], v15 offset0:16 offset1:20
	ds_load_b64 v[13:14], v15 offset:12288
	s_add_i32 s4, s4, -1
	s_waitcnt lgkmcnt(0)
	s_cmp_lg_u32 s4, 0
	s_barrier
	buffer_gl0_inv
	s_cbranch_scc1 .LBB172_1
; %bb.2:
	v_lshlrev_b32_e32 v0, 3, v0
	s_add_u32 s0, s0, s2
	s_addc_u32 s1, s1, s3
	s_delay_alu instid0(VALU_DEP_1) | instskip(NEXT) | instid1(VALU_DEP_1)
	v_add_co_u32 v21, s2, s0, v0
	v_add_co_ci_u32_e64 v22, null, s1, 0, s2
	s_delay_alu instid0(VALU_DEP_2) | instskip(NEXT) | instid1(VALU_DEP_2)
	v_add_co_u32 v15, vcc_lo, 0x1000, v21
	v_add_co_ci_u32_e32 v16, vcc_lo, 0, v22, vcc_lo
	v_add_co_u32 v17, vcc_lo, v21, 0x2000
	v_add_co_ci_u32_e32 v18, vcc_lo, 0, v22, vcc_lo
	;; [unrolled: 2-line block ×3, first 2 shown]
	global_store_b64 v[17:18], v[9:10], off
	v_add_co_u32 v9, vcc_lo, 0x3000, v21
	v_add_co_ci_u32_e32 v10, vcc_lo, 0, v22, vcc_lo
	s_clause 0x5
	global_store_b64 v0, v[1:2], s[0:1]
	global_store_b64 v0, v[3:4], s[0:1] offset:2048
	global_store_b64 v[15:16], v[7:8], off offset:2048
	global_store_b64 v[19:20], v[11:12], off offset:2048
	global_store_b64 v[17:18], v[5:6], off offset:-4096
	global_store_b64 v[9:10], v[13:14], off
	s_nop 0
	s_sendmsg sendmsg(MSG_DEALLOC_VGPRS)
	s_endpgm
	.section	.rodata,"a",@progbits
	.p2align	6, 0x0
	.amdhsa_kernel _Z6kernelI18scatter_to_stripedN15benchmark_utils11custom_typeIffEELj256ELj7ELj100EEvPKT0_PKjPS4_
		.amdhsa_group_segment_fixed_size 14336
		.amdhsa_private_segment_fixed_size 0
		.amdhsa_kernarg_size 24
		.amdhsa_user_sgpr_count 15
		.amdhsa_user_sgpr_dispatch_ptr 0
		.amdhsa_user_sgpr_queue_ptr 0
		.amdhsa_user_sgpr_kernarg_segment_ptr 1
		.amdhsa_user_sgpr_dispatch_id 0
		.amdhsa_user_sgpr_private_segment_size 0
		.amdhsa_wavefront_size32 1
		.amdhsa_uses_dynamic_stack 0
		.amdhsa_enable_private_segment 0
		.amdhsa_system_sgpr_workgroup_id_x 1
		.amdhsa_system_sgpr_workgroup_id_y 0
		.amdhsa_system_sgpr_workgroup_id_z 0
		.amdhsa_system_sgpr_workgroup_info 0
		.amdhsa_system_vgpr_workitem_id 0
		.amdhsa_next_free_vgpr 24
		.amdhsa_next_free_sgpr 16
		.amdhsa_reserve_vcc 1
		.amdhsa_float_round_mode_32 0
		.amdhsa_float_round_mode_16_64 0
		.amdhsa_float_denorm_mode_32 3
		.amdhsa_float_denorm_mode_16_64 3
		.amdhsa_dx10_clamp 1
		.amdhsa_ieee_mode 1
		.amdhsa_fp16_overflow 0
		.amdhsa_workgroup_processor_mode 1
		.amdhsa_memory_ordered 1
		.amdhsa_forward_progress 0
		.amdhsa_shared_vgpr_count 0
		.amdhsa_exception_fp_ieee_invalid_op 0
		.amdhsa_exception_fp_denorm_src 0
		.amdhsa_exception_fp_ieee_div_zero 0
		.amdhsa_exception_fp_ieee_overflow 0
		.amdhsa_exception_fp_ieee_underflow 0
		.amdhsa_exception_fp_ieee_inexact 0
		.amdhsa_exception_int_div_zero 0
	.end_amdhsa_kernel
	.section	.text._Z6kernelI18scatter_to_stripedN15benchmark_utils11custom_typeIffEELj256ELj7ELj100EEvPKT0_PKjPS4_,"axG",@progbits,_Z6kernelI18scatter_to_stripedN15benchmark_utils11custom_typeIffEELj256ELj7ELj100EEvPKT0_PKjPS4_,comdat
.Lfunc_end172:
	.size	_Z6kernelI18scatter_to_stripedN15benchmark_utils11custom_typeIffEELj256ELj7ELj100EEvPKT0_PKjPS4_, .Lfunc_end172-_Z6kernelI18scatter_to_stripedN15benchmark_utils11custom_typeIffEELj256ELj7ELj100EEvPKT0_PKjPS4_
                                        ; -- End function
	.section	.AMDGPU.csdata,"",@progbits
; Kernel info:
; codeLenInByte = 692
; NumSgprs: 18
; NumVgprs: 24
; ScratchSize: 0
; MemoryBound: 0
; FloatMode: 240
; IeeeMode: 1
; LDSByteSize: 14336 bytes/workgroup (compile time only)
; SGPRBlocks: 2
; VGPRBlocks: 2
; NumSGPRsForWavesPerEU: 18
; NumVGPRsForWavesPerEU: 24
; Occupancy: 16
; WaveLimiterHint : 1
; COMPUTE_PGM_RSRC2:SCRATCH_EN: 0
; COMPUTE_PGM_RSRC2:USER_SGPR: 15
; COMPUTE_PGM_RSRC2:TRAP_HANDLER: 0
; COMPUTE_PGM_RSRC2:TGID_X_EN: 1
; COMPUTE_PGM_RSRC2:TGID_Y_EN: 0
; COMPUTE_PGM_RSRC2:TGID_Z_EN: 0
; COMPUTE_PGM_RSRC2:TIDIG_COMP_CNT: 0
	.section	.text._Z6kernelI18scatter_to_stripedN15benchmark_utils11custom_typeIffEELj256ELj8ELj100EEvPKT0_PKjPS4_,"axG",@progbits,_Z6kernelI18scatter_to_stripedN15benchmark_utils11custom_typeIffEELj256ELj8ELj100EEvPKT0_PKjPS4_,comdat
	.protected	_Z6kernelI18scatter_to_stripedN15benchmark_utils11custom_typeIffEELj256ELj8ELj100EEvPKT0_PKjPS4_ ; -- Begin function _Z6kernelI18scatter_to_stripedN15benchmark_utils11custom_typeIffEELj256ELj8ELj100EEvPKT0_PKjPS4_
	.globl	_Z6kernelI18scatter_to_stripedN15benchmark_utils11custom_typeIffEELj256ELj8ELj100EEvPKT0_PKjPS4_
	.p2align	8
	.type	_Z6kernelI18scatter_to_stripedN15benchmark_utils11custom_typeIffEELj256ELj8ELj100EEvPKT0_PKjPS4_,@function
_Z6kernelI18scatter_to_stripedN15benchmark_utils11custom_typeIffEELj256ELj8ELj100EEvPKT0_PKjPS4_: ; @_Z6kernelI18scatter_to_stripedN15benchmark_utils11custom_typeIffEELj256ELj8ELj100EEvPKT0_PKjPS4_
; %bb.0:
	s_load_b128 s[4:7], s[0:1], 0x0
	s_mov_b32 s9, 0
	s_lshl_b32 s8, s15, 11
	v_lshlrev_b32_e32 v17, 3, v0
	s_lshl_b64 s[2:3], s[8:9], 3
	v_lshlrev_b32_e32 v13, 2, v0
	s_load_b64 s[0:1], s[0:1], 0x10
	s_waitcnt lgkmcnt(0)
	s_add_u32 s4, s4, s2
	s_addc_u32 s5, s5, s3
	v_add_co_u32 v5, s10, s4, v17
	s_delay_alu instid0(VALU_DEP_1) | instskip(SKIP_1) | instid1(VALU_DEP_2)
	v_add_co_ci_u32_e64 v6, null, s5, 0, s10
	s_lshl_b64 s[8:9], s[8:9], 2
	v_add_co_u32 v7, vcc_lo, 0x1000, v5
	s_delay_alu instid0(VALU_DEP_2)
	v_add_co_ci_u32_e32 v8, vcc_lo, 0, v6, vcc_lo
	v_add_co_u32 v9, vcc_lo, v5, 0x2000
	s_clause 0x1
	global_load_b64 v[1:2], v17, s[4:5]
	global_load_b64 v[3:4], v17, s[4:5] offset:2048
	v_add_co_ci_u32_e32 v10, vcc_lo, 0, v6, vcc_lo
	s_add_u32 s4, s6, s8
	v_add_co_u32 v11, vcc_lo, 0x2000, v5
	s_addc_u32 s5, s7, s9
	v_add_co_u32 v14, s6, s4, v13
	v_add_co_ci_u32_e32 v12, vcc_lo, 0, v6, vcc_lo
	v_add_co_ci_u32_e64 v15, null, s5, 0, s6
	v_add_co_u32 v18, vcc_lo, 0x3000, v5
	v_add_co_ci_u32_e32 v19, vcc_lo, 0, v6, vcc_lo
	v_add_co_u32 v5, vcc_lo, 0x1000, v14
	s_delay_alu instid0(VALU_DEP_4)
	v_add_co_ci_u32_e32 v6, vcc_lo, 0, v15, vcc_lo
	s_clause 0x7
	global_load_b32 v20, v13, s[4:5]
	global_load_b32 v21, v13, s[4:5] offset:1024
	global_load_b32 v22, v13, s[4:5] offset:2048
	;; [unrolled: 1-line block ×3, first 2 shown]
	global_load_b32 v24, v[5:6], off
	global_load_b32 v25, v[5:6], off offset:1024
	global_load_b32 v26, v[5:6], off offset:2048
	;; [unrolled: 1-line block ×3, first 2 shown]
	s_clause 0x5
	global_load_b64 v[5:6], v[9:10], off offset:-4096
	global_load_b64 v[13:14], v[9:10], off
	global_load_b64 v[7:8], v[7:8], off offset:2048
	global_load_b64 v[15:16], v[11:12], off offset:2048
	global_load_b64 v[9:10], v[18:19], off
	global_load_b64 v[11:12], v[18:19], off offset:2048
	s_movk_i32 s4, 0x64
	s_waitcnt vmcnt(13)
	v_lshlrev_b32_e32 v18, 3, v20
	s_waitcnt vmcnt(12)
	v_lshlrev_b32_e32 v19, 3, v21
	;; [unrolled: 2-line block ×8, first 2 shown]
	.p2align	6
.LBB173_1:                              ; =>This Inner Loop Header: Depth=1
	ds_store_b64 v18, v[1:2]
	ds_store_b64 v19, v[3:4]
	s_waitcnt vmcnt(5)
	ds_store_b64 v20, v[5:6]
	s_waitcnt vmcnt(3)
	ds_store_b64 v21, v[7:8]
	ds_store_b64 v22, v[13:14]
	s_waitcnt vmcnt(2)
	ds_store_b64 v23, v[15:16]
	s_waitcnt vmcnt(1)
	ds_store_b64 v24, v[9:10]
	s_waitcnt vmcnt(0)
	ds_store_b64 v25, v[11:12]
	s_waitcnt lgkmcnt(0)
	s_barrier
	buffer_gl0_inv
	ds_load_2addr_stride64_b64 v[1:4], v17 offset1:4
	ds_load_2addr_stride64_b64 v[5:8], v17 offset0:8 offset1:12
	ds_load_2addr_stride64_b64 v[13:16], v17 offset0:16 offset1:20
	ds_load_2addr_stride64_b64 v[9:12], v17 offset0:24 offset1:28
	s_add_i32 s4, s4, -1
	s_waitcnt lgkmcnt(0)
	s_cmp_lg_u32 s4, 0
	s_barrier
	buffer_gl0_inv
	s_cbranch_scc1 .LBB173_1
; %bb.2:
	v_lshlrev_b32_e32 v0, 3, v0
	s_add_u32 s0, s0, s2
	s_addc_u32 s1, s1, s3
	s_delay_alu instid0(VALU_DEP_1) | instskip(NEXT) | instid1(VALU_DEP_1)
	v_add_co_u32 v23, s2, s0, v0
	v_add_co_ci_u32_e64 v24, null, s1, 0, s2
	s_delay_alu instid0(VALU_DEP_2) | instskip(NEXT) | instid1(VALU_DEP_2)
	v_add_co_u32 v17, vcc_lo, 0x1000, v23
	v_add_co_ci_u32_e32 v18, vcc_lo, 0, v24, vcc_lo
	v_add_co_u32 v19, vcc_lo, v23, 0x2000
	v_add_co_ci_u32_e32 v20, vcc_lo, 0, v24, vcc_lo
	;; [unrolled: 2-line block ×3, first 2 shown]
	global_store_b64 v[19:20], v[13:14], off
	v_add_co_u32 v13, vcc_lo, 0x3000, v23
	v_add_co_ci_u32_e32 v14, vcc_lo, 0, v24, vcc_lo
	s_clause 0x6
	global_store_b64 v0, v[1:2], s[0:1]
	global_store_b64 v0, v[3:4], s[0:1] offset:2048
	global_store_b64 v[17:18], v[7:8], off offset:2048
	global_store_b64 v[21:22], v[15:16], off offset:2048
	global_store_b64 v[13:14], v[9:10], off
	global_store_b64 v[19:20], v[5:6], off offset:-4096
	global_store_b64 v[13:14], v[11:12], off offset:2048
	s_nop 0
	s_sendmsg sendmsg(MSG_DEALLOC_VGPRS)
	s_endpgm
	.section	.rodata,"a",@progbits
	.p2align	6, 0x0
	.amdhsa_kernel _Z6kernelI18scatter_to_stripedN15benchmark_utils11custom_typeIffEELj256ELj8ELj100EEvPKT0_PKjPS4_
		.amdhsa_group_segment_fixed_size 16896
		.amdhsa_private_segment_fixed_size 0
		.amdhsa_kernarg_size 24
		.amdhsa_user_sgpr_count 15
		.amdhsa_user_sgpr_dispatch_ptr 0
		.amdhsa_user_sgpr_queue_ptr 0
		.amdhsa_user_sgpr_kernarg_segment_ptr 1
		.amdhsa_user_sgpr_dispatch_id 0
		.amdhsa_user_sgpr_private_segment_size 0
		.amdhsa_wavefront_size32 1
		.amdhsa_uses_dynamic_stack 0
		.amdhsa_enable_private_segment 0
		.amdhsa_system_sgpr_workgroup_id_x 1
		.amdhsa_system_sgpr_workgroup_id_y 0
		.amdhsa_system_sgpr_workgroup_id_z 0
		.amdhsa_system_sgpr_workgroup_info 0
		.amdhsa_system_vgpr_workitem_id 0
		.amdhsa_next_free_vgpr 28
		.amdhsa_next_free_sgpr 16
		.amdhsa_reserve_vcc 1
		.amdhsa_float_round_mode_32 0
		.amdhsa_float_round_mode_16_64 0
		.amdhsa_float_denorm_mode_32 3
		.amdhsa_float_denorm_mode_16_64 3
		.amdhsa_dx10_clamp 1
		.amdhsa_ieee_mode 1
		.amdhsa_fp16_overflow 0
		.amdhsa_workgroup_processor_mode 1
		.amdhsa_memory_ordered 1
		.amdhsa_forward_progress 0
		.amdhsa_shared_vgpr_count 0
		.amdhsa_exception_fp_ieee_invalid_op 0
		.amdhsa_exception_fp_denorm_src 0
		.amdhsa_exception_fp_ieee_div_zero 0
		.amdhsa_exception_fp_ieee_overflow 0
		.amdhsa_exception_fp_ieee_underflow 0
		.amdhsa_exception_fp_ieee_inexact 0
		.amdhsa_exception_int_div_zero 0
	.end_amdhsa_kernel
	.section	.text._Z6kernelI18scatter_to_stripedN15benchmark_utils11custom_typeIffEELj256ELj8ELj100EEvPKT0_PKjPS4_,"axG",@progbits,_Z6kernelI18scatter_to_stripedN15benchmark_utils11custom_typeIffEELj256ELj8ELj100EEvPKT0_PKjPS4_,comdat
.Lfunc_end173:
	.size	_Z6kernelI18scatter_to_stripedN15benchmark_utils11custom_typeIffEELj256ELj8ELj100EEvPKT0_PKjPS4_, .Lfunc_end173-_Z6kernelI18scatter_to_stripedN15benchmark_utils11custom_typeIffEELj256ELj8ELj100EEvPKT0_PKjPS4_
                                        ; -- End function
	.section	.AMDGPU.csdata,"",@progbits
; Kernel info:
; codeLenInByte = 732
; NumSgprs: 18
; NumVgprs: 28
; ScratchSize: 0
; MemoryBound: 0
; FloatMode: 240
; IeeeMode: 1
; LDSByteSize: 16896 bytes/workgroup (compile time only)
; SGPRBlocks: 2
; VGPRBlocks: 3
; NumSGPRsForWavesPerEU: 18
; NumVGPRsForWavesPerEU: 28
; Occupancy: 14
; WaveLimiterHint : 1
; COMPUTE_PGM_RSRC2:SCRATCH_EN: 0
; COMPUTE_PGM_RSRC2:USER_SGPR: 15
; COMPUTE_PGM_RSRC2:TRAP_HANDLER: 0
; COMPUTE_PGM_RSRC2:TGID_X_EN: 1
; COMPUTE_PGM_RSRC2:TGID_Y_EN: 0
; COMPUTE_PGM_RSRC2:TGID_Z_EN: 0
; COMPUTE_PGM_RSRC2:TIDIG_COMP_CNT: 0
	.section	.text._Z6kernelI18scatter_to_stripedN15benchmark_utils11custom_typeIddEELj256ELj1ELj100EEvPKT0_PKjPS4_,"axG",@progbits,_Z6kernelI18scatter_to_stripedN15benchmark_utils11custom_typeIddEELj256ELj1ELj100EEvPKT0_PKjPS4_,comdat
	.protected	_Z6kernelI18scatter_to_stripedN15benchmark_utils11custom_typeIddEELj256ELj1ELj100EEvPKT0_PKjPS4_ ; -- Begin function _Z6kernelI18scatter_to_stripedN15benchmark_utils11custom_typeIddEELj256ELj1ELj100EEvPKT0_PKjPS4_
	.globl	_Z6kernelI18scatter_to_stripedN15benchmark_utils11custom_typeIddEELj256ELj1ELj100EEvPKT0_PKjPS4_
	.p2align	8
	.type	_Z6kernelI18scatter_to_stripedN15benchmark_utils11custom_typeIddEELj256ELj1ELj100EEvPKT0_PKjPS4_,@function
_Z6kernelI18scatter_to_stripedN15benchmark_utils11custom_typeIddEELj256ELj1ELj100EEvPKT0_PKjPS4_: ; @_Z6kernelI18scatter_to_stripedN15benchmark_utils11custom_typeIddEELj256ELj1ELj100EEvPKT0_PKjPS4_
; %bb.0:
	s_load_b128 s[4:7], s[0:1], 0x0
	s_mov_b32 s9, 0
	s_lshl_b32 s8, s15, 8
	v_lshlrev_b32_e32 v1, 2, v0
	s_lshl_b64 s[2:3], s[8:9], 4
	v_lshlrev_b32_e32 v5, 4, v0
	s_load_b64 s[0:1], s[0:1], 0x10
	s_waitcnt lgkmcnt(0)
	s_add_u32 s4, s4, s2
	s_addc_u32 s5, s5, s3
	s_lshl_b64 s[8:9], s[8:9], 2
	s_delay_alu instid0(SALU_CYCLE_1)
	s_add_u32 s6, s6, s8
	s_addc_u32 s7, s7, s9
	global_load_b32 v6, v1, s[6:7]
	global_load_b128 v[1:4], v5, s[4:5]
	s_movk_i32 s4, 0x64
	s_waitcnt vmcnt(1)
	v_lshlrev_b32_e32 v6, 4, v6
.LBB174_1:                              ; =>This Inner Loop Header: Depth=1
	s_waitcnt vmcnt(0)
	ds_store_b128 v6, v[1:4]
	s_waitcnt lgkmcnt(0)
	s_barrier
	buffer_gl0_inv
	ds_load_b128 v[1:4], v5
	s_add_i32 s4, s4, -1
	s_waitcnt lgkmcnt(0)
	s_cmp_lg_u32 s4, 0
	s_barrier
	buffer_gl0_inv
	s_cbranch_scc1 .LBB174_1
; %bb.2:
	v_lshlrev_b32_e32 v0, 4, v0
	s_add_u32 s0, s0, s2
	s_addc_u32 s1, s1, s3
	global_store_b128 v0, v[1:4], s[0:1]
	s_nop 0
	s_sendmsg sendmsg(MSG_DEALLOC_VGPRS)
	s_endpgm
	.section	.rodata,"a",@progbits
	.p2align	6, 0x0
	.amdhsa_kernel _Z6kernelI18scatter_to_stripedN15benchmark_utils11custom_typeIddEELj256ELj1ELj100EEvPKT0_PKjPS4_
		.amdhsa_group_segment_fixed_size 4096
		.amdhsa_private_segment_fixed_size 0
		.amdhsa_kernarg_size 24
		.amdhsa_user_sgpr_count 15
		.amdhsa_user_sgpr_dispatch_ptr 0
		.amdhsa_user_sgpr_queue_ptr 0
		.amdhsa_user_sgpr_kernarg_segment_ptr 1
		.amdhsa_user_sgpr_dispatch_id 0
		.amdhsa_user_sgpr_private_segment_size 0
		.amdhsa_wavefront_size32 1
		.amdhsa_uses_dynamic_stack 0
		.amdhsa_enable_private_segment 0
		.amdhsa_system_sgpr_workgroup_id_x 1
		.amdhsa_system_sgpr_workgroup_id_y 0
		.amdhsa_system_sgpr_workgroup_id_z 0
		.amdhsa_system_sgpr_workgroup_info 0
		.amdhsa_system_vgpr_workitem_id 0
		.amdhsa_next_free_vgpr 7
		.amdhsa_next_free_sgpr 16
		.amdhsa_reserve_vcc 0
		.amdhsa_float_round_mode_32 0
		.amdhsa_float_round_mode_16_64 0
		.amdhsa_float_denorm_mode_32 3
		.amdhsa_float_denorm_mode_16_64 3
		.amdhsa_dx10_clamp 1
		.amdhsa_ieee_mode 1
		.amdhsa_fp16_overflow 0
		.amdhsa_workgroup_processor_mode 1
		.amdhsa_memory_ordered 1
		.amdhsa_forward_progress 0
		.amdhsa_shared_vgpr_count 0
		.amdhsa_exception_fp_ieee_invalid_op 0
		.amdhsa_exception_fp_denorm_src 0
		.amdhsa_exception_fp_ieee_div_zero 0
		.amdhsa_exception_fp_ieee_overflow 0
		.amdhsa_exception_fp_ieee_underflow 0
		.amdhsa_exception_fp_ieee_inexact 0
		.amdhsa_exception_int_div_zero 0
	.end_amdhsa_kernel
	.section	.text._Z6kernelI18scatter_to_stripedN15benchmark_utils11custom_typeIddEELj256ELj1ELj100EEvPKT0_PKjPS4_,"axG",@progbits,_Z6kernelI18scatter_to_stripedN15benchmark_utils11custom_typeIddEELj256ELj1ELj100EEvPKT0_PKjPS4_,comdat
.Lfunc_end174:
	.size	_Z6kernelI18scatter_to_stripedN15benchmark_utils11custom_typeIddEELj256ELj1ELj100EEvPKT0_PKjPS4_, .Lfunc_end174-_Z6kernelI18scatter_to_stripedN15benchmark_utils11custom_typeIddEELj256ELj1ELj100EEvPKT0_PKjPS4_
                                        ; -- End function
	.section	.AMDGPU.csdata,"",@progbits
; Kernel info:
; codeLenInByte = 188
; NumSgprs: 16
; NumVgprs: 7
; ScratchSize: 0
; MemoryBound: 0
; FloatMode: 240
; IeeeMode: 1
; LDSByteSize: 4096 bytes/workgroup (compile time only)
; SGPRBlocks: 1
; VGPRBlocks: 0
; NumSGPRsForWavesPerEU: 16
; NumVGPRsForWavesPerEU: 7
; Occupancy: 16
; WaveLimiterHint : 0
; COMPUTE_PGM_RSRC2:SCRATCH_EN: 0
; COMPUTE_PGM_RSRC2:USER_SGPR: 15
; COMPUTE_PGM_RSRC2:TRAP_HANDLER: 0
; COMPUTE_PGM_RSRC2:TGID_X_EN: 1
; COMPUTE_PGM_RSRC2:TGID_Y_EN: 0
; COMPUTE_PGM_RSRC2:TGID_Z_EN: 0
; COMPUTE_PGM_RSRC2:TIDIG_COMP_CNT: 0
	.section	.text._Z6kernelI18scatter_to_stripedN15benchmark_utils11custom_typeIddEELj256ELj2ELj100EEvPKT0_PKjPS4_,"axG",@progbits,_Z6kernelI18scatter_to_stripedN15benchmark_utils11custom_typeIddEELj256ELj2ELj100EEvPKT0_PKjPS4_,comdat
	.protected	_Z6kernelI18scatter_to_stripedN15benchmark_utils11custom_typeIddEELj256ELj2ELj100EEvPKT0_PKjPS4_ ; -- Begin function _Z6kernelI18scatter_to_stripedN15benchmark_utils11custom_typeIddEELj256ELj2ELj100EEvPKT0_PKjPS4_
	.globl	_Z6kernelI18scatter_to_stripedN15benchmark_utils11custom_typeIddEELj256ELj2ELj100EEvPKT0_PKjPS4_
	.p2align	8
	.type	_Z6kernelI18scatter_to_stripedN15benchmark_utils11custom_typeIddEELj256ELj2ELj100EEvPKT0_PKjPS4_,@function
_Z6kernelI18scatter_to_stripedN15benchmark_utils11custom_typeIddEELj256ELj2ELj100EEvPKT0_PKjPS4_: ; @_Z6kernelI18scatter_to_stripedN15benchmark_utils11custom_typeIddEELj256ELj2ELj100EEvPKT0_PKjPS4_
; %bb.0:
	s_load_b128 s[4:7], s[0:1], 0x0
	s_mov_b32 s9, 0
	s_lshl_b32 s8, s15, 9
	v_lshlrev_b32_e32 v9, 4, v0
	s_lshl_b64 s[2:3], s[8:9], 4
	v_lshlrev_b32_e32 v3, 2, v0
	s_load_b64 s[0:1], s[0:1], 0x10
	s_waitcnt lgkmcnt(0)
	s_add_u32 s4, s4, s2
	s_addc_u32 s5, s5, s3
	v_add_co_u32 v1, s10, s4, v9
	s_delay_alu instid0(VALU_DEP_1) | instskip(SKIP_1) | instid1(VALU_DEP_2)
	v_add_co_ci_u32_e64 v2, null, s5, 0, s10
	s_lshl_b64 s[8:9], s[8:9], 2
	v_add_co_u32 v1, vcc_lo, 0x1000, v1
	s_add_u32 s6, s6, s8
	s_addc_u32 s7, s7, s9
	v_add_co_ci_u32_e32 v2, vcc_lo, 0, v2, vcc_lo
	s_clause 0x1
	global_load_b32 v10, v3, s[6:7]
	global_load_b32 v11, v3, s[6:7] offset:1024
	s_clause 0x1
	global_load_b128 v[5:8], v9, s[4:5]
	global_load_b128 v[1:4], v[1:2], off
	s_movk_i32 s4, 0x64
	s_waitcnt vmcnt(3)
	v_lshlrev_b32_e32 v10, 4, v10
	s_waitcnt vmcnt(2)
	v_lshlrev_b32_e32 v11, 4, v11
.LBB175_1:                              ; =>This Inner Loop Header: Depth=1
	s_waitcnt vmcnt(1)
	ds_store_b128 v10, v[5:8]
	s_waitcnt vmcnt(0)
	ds_store_b128 v11, v[1:4]
	s_waitcnt lgkmcnt(0)
	s_barrier
	buffer_gl0_inv
	ds_load_b128 v[5:8], v9
	ds_load_b128 v[1:4], v9 offset:4096
	s_add_i32 s4, s4, -1
	s_waitcnt lgkmcnt(0)
	s_cmp_lg_u32 s4, 0
	s_barrier
	buffer_gl0_inv
	s_cbranch_scc1 .LBB175_1
; %bb.2:
	v_lshlrev_b32_e32 v0, 4, v0
	s_add_u32 s0, s0, s2
	s_addc_u32 s1, s1, s3
	s_delay_alu instid0(VALU_DEP_1) | instskip(NEXT) | instid1(VALU_DEP_1)
	v_add_co_u32 v9, s2, s0, v0
	v_add_co_ci_u32_e64 v10, null, s1, 0, s2
	s_delay_alu instid0(VALU_DEP_2) | instskip(NEXT) | instid1(VALU_DEP_2)
	v_add_co_u32 v9, vcc_lo, 0x1000, v9
	v_add_co_ci_u32_e32 v10, vcc_lo, 0, v10, vcc_lo
	s_clause 0x1
	global_store_b128 v0, v[5:8], s[0:1]
	global_store_b128 v[9:10], v[1:4], off
	s_nop 0
	s_sendmsg sendmsg(MSG_DEALLOC_VGPRS)
	s_endpgm
	.section	.rodata,"a",@progbits
	.p2align	6, 0x0
	.amdhsa_kernel _Z6kernelI18scatter_to_stripedN15benchmark_utils11custom_typeIddEELj256ELj2ELj100EEvPKT0_PKjPS4_
		.amdhsa_group_segment_fixed_size 8448
		.amdhsa_private_segment_fixed_size 0
		.amdhsa_kernarg_size 24
		.amdhsa_user_sgpr_count 15
		.amdhsa_user_sgpr_dispatch_ptr 0
		.amdhsa_user_sgpr_queue_ptr 0
		.amdhsa_user_sgpr_kernarg_segment_ptr 1
		.amdhsa_user_sgpr_dispatch_id 0
		.amdhsa_user_sgpr_private_segment_size 0
		.amdhsa_wavefront_size32 1
		.amdhsa_uses_dynamic_stack 0
		.amdhsa_enable_private_segment 0
		.amdhsa_system_sgpr_workgroup_id_x 1
		.amdhsa_system_sgpr_workgroup_id_y 0
		.amdhsa_system_sgpr_workgroup_id_z 0
		.amdhsa_system_sgpr_workgroup_info 0
		.amdhsa_system_vgpr_workitem_id 0
		.amdhsa_next_free_vgpr 12
		.amdhsa_next_free_sgpr 16
		.amdhsa_reserve_vcc 1
		.amdhsa_float_round_mode_32 0
		.amdhsa_float_round_mode_16_64 0
		.amdhsa_float_denorm_mode_32 3
		.amdhsa_float_denorm_mode_16_64 3
		.amdhsa_dx10_clamp 1
		.amdhsa_ieee_mode 1
		.amdhsa_fp16_overflow 0
		.amdhsa_workgroup_processor_mode 1
		.amdhsa_memory_ordered 1
		.amdhsa_forward_progress 0
		.amdhsa_shared_vgpr_count 0
		.amdhsa_exception_fp_ieee_invalid_op 0
		.amdhsa_exception_fp_denorm_src 0
		.amdhsa_exception_fp_ieee_div_zero 0
		.amdhsa_exception_fp_ieee_overflow 0
		.amdhsa_exception_fp_ieee_underflow 0
		.amdhsa_exception_fp_ieee_inexact 0
		.amdhsa_exception_int_div_zero 0
	.end_amdhsa_kernel
	.section	.text._Z6kernelI18scatter_to_stripedN15benchmark_utils11custom_typeIddEELj256ELj2ELj100EEvPKT0_PKjPS4_,"axG",@progbits,_Z6kernelI18scatter_to_stripedN15benchmark_utils11custom_typeIddEELj256ELj2ELj100EEvPKT0_PKjPS4_,comdat
.Lfunc_end175:
	.size	_Z6kernelI18scatter_to_stripedN15benchmark_utils11custom_typeIddEELj256ELj2ELj100EEvPKT0_PKjPS4_, .Lfunc_end175-_Z6kernelI18scatter_to_stripedN15benchmark_utils11custom_typeIddEELj256ELj2ELj100EEvPKT0_PKjPS4_
                                        ; -- End function
	.section	.AMDGPU.csdata,"",@progbits
; Kernel info:
; codeLenInByte = 324
; NumSgprs: 18
; NumVgprs: 12
; ScratchSize: 0
; MemoryBound: 0
; FloatMode: 240
; IeeeMode: 1
; LDSByteSize: 8448 bytes/workgroup (compile time only)
; SGPRBlocks: 2
; VGPRBlocks: 1
; NumSGPRsForWavesPerEU: 18
; NumVGPRsForWavesPerEU: 12
; Occupancy: 16
; WaveLimiterHint : 1
; COMPUTE_PGM_RSRC2:SCRATCH_EN: 0
; COMPUTE_PGM_RSRC2:USER_SGPR: 15
; COMPUTE_PGM_RSRC2:TRAP_HANDLER: 0
; COMPUTE_PGM_RSRC2:TGID_X_EN: 1
; COMPUTE_PGM_RSRC2:TGID_Y_EN: 0
; COMPUTE_PGM_RSRC2:TGID_Z_EN: 0
; COMPUTE_PGM_RSRC2:TIDIG_COMP_CNT: 0
	.section	.text._Z6kernelI18scatter_to_stripedN15benchmark_utils11custom_typeIddEELj256ELj3ELj100EEvPKT0_PKjPS4_,"axG",@progbits,_Z6kernelI18scatter_to_stripedN15benchmark_utils11custom_typeIddEELj256ELj3ELj100EEvPKT0_PKjPS4_,comdat
	.protected	_Z6kernelI18scatter_to_stripedN15benchmark_utils11custom_typeIddEELj256ELj3ELj100EEvPKT0_PKjPS4_ ; -- Begin function _Z6kernelI18scatter_to_stripedN15benchmark_utils11custom_typeIddEELj256ELj3ELj100EEvPKT0_PKjPS4_
	.globl	_Z6kernelI18scatter_to_stripedN15benchmark_utils11custom_typeIddEELj256ELj3ELj100EEvPKT0_PKjPS4_
	.p2align	8
	.type	_Z6kernelI18scatter_to_stripedN15benchmark_utils11custom_typeIddEELj256ELj3ELj100EEvPKT0_PKjPS4_,@function
_Z6kernelI18scatter_to_stripedN15benchmark_utils11custom_typeIddEELj256ELj3ELj100EEvPKT0_PKjPS4_: ; @_Z6kernelI18scatter_to_stripedN15benchmark_utils11custom_typeIddEELj256ELj3ELj100EEvPKT0_PKjPS4_
; %bb.0:
	s_load_b128 s[4:7], s[0:1], 0x0
	s_mov_b32 s9, 0
	s_mul_i32 s8, s15, 0x300
	v_lshlrev_b32_e32 v13, 4, v0
	s_lshl_b64 s[2:3], s[8:9], 4
	v_lshlrev_b32_e32 v3, 2, v0
	s_load_b64 s[0:1], s[0:1], 0x10
	s_waitcnt lgkmcnt(0)
	s_add_u32 s4, s4, s2
	s_addc_u32 s5, s5, s3
	v_add_co_u32 v1, s10, s4, v13
	s_delay_alu instid0(VALU_DEP_1) | instskip(SKIP_1) | instid1(VALU_DEP_2)
	v_add_co_ci_u32_e64 v2, null, s5, 0, s10
	s_lshl_b64 s[8:9], s[8:9], 2
	v_add_co_u32 v1, vcc_lo, v1, 0x2000
	s_add_u32 s6, s6, s8
	s_addc_u32 s7, s7, s9
	v_add_co_ci_u32_e32 v2, vcc_lo, 0, v2, vcc_lo
	s_clause 0x2
	global_load_b32 v14, v3, s[6:7]
	global_load_b32 v15, v3, s[6:7] offset:1024
	global_load_b32 v16, v3, s[6:7] offset:2048
	s_clause 0x2
	global_load_b128 v[9:12], v13, s[4:5]
	global_load_b128 v[5:8], v[1:2], off offset:-4096
	global_load_b128 v[1:4], v[1:2], off
	s_movk_i32 s4, 0x64
	s_waitcnt vmcnt(5)
	v_lshlrev_b32_e32 v14, 4, v14
	s_waitcnt vmcnt(4)
	v_lshlrev_b32_e32 v15, 4, v15
	;; [unrolled: 2-line block ×3, first 2 shown]
	.p2align	6
.LBB176_1:                              ; =>This Inner Loop Header: Depth=1
	s_waitcnt vmcnt(2)
	ds_store_b128 v14, v[9:12]
	s_waitcnt vmcnt(1)
	ds_store_b128 v15, v[5:8]
	;; [unrolled: 2-line block ×3, first 2 shown]
	s_waitcnt lgkmcnt(0)
	s_barrier
	buffer_gl0_inv
	ds_load_b128 v[9:12], v13
	ds_load_b128 v[5:8], v13 offset:4096
	ds_load_b128 v[1:4], v13 offset:8192
	s_add_i32 s4, s4, -1
	s_waitcnt lgkmcnt(0)
	s_cmp_lg_u32 s4, 0
	s_barrier
	buffer_gl0_inv
	s_cbranch_scc1 .LBB176_1
; %bb.2:
	v_lshlrev_b32_e32 v0, 4, v0
	s_add_u32 s0, s0, s2
	s_addc_u32 s1, s1, s3
	s_delay_alu instid0(VALU_DEP_1) | instskip(NEXT) | instid1(VALU_DEP_1)
	v_add_co_u32 v13, s2, s0, v0
	v_add_co_ci_u32_e64 v14, null, s1, 0, s2
	s_delay_alu instid0(VALU_DEP_2) | instskip(NEXT) | instid1(VALU_DEP_2)
	v_add_co_u32 v13, vcc_lo, v13, 0x2000
	v_add_co_ci_u32_e32 v14, vcc_lo, 0, v14, vcc_lo
	s_clause 0x2
	global_store_b128 v0, v[9:12], s[0:1]
	global_store_b128 v[13:14], v[5:8], off offset:-4096
	global_store_b128 v[13:14], v[1:4], off
	s_nop 0
	s_sendmsg sendmsg(MSG_DEALLOC_VGPRS)
	s_endpgm
	.section	.rodata,"a",@progbits
	.p2align	6, 0x0
	.amdhsa_kernel _Z6kernelI18scatter_to_stripedN15benchmark_utils11custom_typeIddEELj256ELj3ELj100EEvPKT0_PKjPS4_
		.amdhsa_group_segment_fixed_size 12288
		.amdhsa_private_segment_fixed_size 0
		.amdhsa_kernarg_size 24
		.amdhsa_user_sgpr_count 15
		.amdhsa_user_sgpr_dispatch_ptr 0
		.amdhsa_user_sgpr_queue_ptr 0
		.amdhsa_user_sgpr_kernarg_segment_ptr 1
		.amdhsa_user_sgpr_dispatch_id 0
		.amdhsa_user_sgpr_private_segment_size 0
		.amdhsa_wavefront_size32 1
		.amdhsa_uses_dynamic_stack 0
		.amdhsa_enable_private_segment 0
		.amdhsa_system_sgpr_workgroup_id_x 1
		.amdhsa_system_sgpr_workgroup_id_y 0
		.amdhsa_system_sgpr_workgroup_id_z 0
		.amdhsa_system_sgpr_workgroup_info 0
		.amdhsa_system_vgpr_workitem_id 0
		.amdhsa_next_free_vgpr 17
		.amdhsa_next_free_sgpr 16
		.amdhsa_reserve_vcc 1
		.amdhsa_float_round_mode_32 0
		.amdhsa_float_round_mode_16_64 0
		.amdhsa_float_denorm_mode_32 3
		.amdhsa_float_denorm_mode_16_64 3
		.amdhsa_dx10_clamp 1
		.amdhsa_ieee_mode 1
		.amdhsa_fp16_overflow 0
		.amdhsa_workgroup_processor_mode 1
		.amdhsa_memory_ordered 1
		.amdhsa_forward_progress 0
		.amdhsa_shared_vgpr_count 0
		.amdhsa_exception_fp_ieee_invalid_op 0
		.amdhsa_exception_fp_denorm_src 0
		.amdhsa_exception_fp_ieee_div_zero 0
		.amdhsa_exception_fp_ieee_overflow 0
		.amdhsa_exception_fp_ieee_underflow 0
		.amdhsa_exception_fp_ieee_inexact 0
		.amdhsa_exception_int_div_zero 0
	.end_amdhsa_kernel
	.section	.text._Z6kernelI18scatter_to_stripedN15benchmark_utils11custom_typeIddEELj256ELj3ELj100EEvPKT0_PKjPS4_,"axG",@progbits,_Z6kernelI18scatter_to_stripedN15benchmark_utils11custom_typeIddEELj256ELj3ELj100EEvPKT0_PKjPS4_,comdat
.Lfunc_end176:
	.size	_Z6kernelI18scatter_to_stripedN15benchmark_utils11custom_typeIddEELj256ELj3ELj100EEvPKT0_PKjPS4_, .Lfunc_end176-_Z6kernelI18scatter_to_stripedN15benchmark_utils11custom_typeIddEELj256ELj3ELj100EEvPKT0_PKjPS4_
                                        ; -- End function
	.section	.AMDGPU.csdata,"",@progbits
; Kernel info:
; codeLenInByte = 380
; NumSgprs: 18
; NumVgprs: 17
; ScratchSize: 0
; MemoryBound: 0
; FloatMode: 240
; IeeeMode: 1
; LDSByteSize: 12288 bytes/workgroup (compile time only)
; SGPRBlocks: 2
; VGPRBlocks: 2
; NumSGPRsForWavesPerEU: 18
; NumVGPRsForWavesPerEU: 17
; Occupancy: 16
; WaveLimiterHint : 1
; COMPUTE_PGM_RSRC2:SCRATCH_EN: 0
; COMPUTE_PGM_RSRC2:USER_SGPR: 15
; COMPUTE_PGM_RSRC2:TRAP_HANDLER: 0
; COMPUTE_PGM_RSRC2:TGID_X_EN: 1
; COMPUTE_PGM_RSRC2:TGID_Y_EN: 0
; COMPUTE_PGM_RSRC2:TGID_Z_EN: 0
; COMPUTE_PGM_RSRC2:TIDIG_COMP_CNT: 0
	.section	.text._Z6kernelI18scatter_to_stripedN15benchmark_utils11custom_typeIddEELj256ELj4ELj100EEvPKT0_PKjPS4_,"axG",@progbits,_Z6kernelI18scatter_to_stripedN15benchmark_utils11custom_typeIddEELj256ELj4ELj100EEvPKT0_PKjPS4_,comdat
	.protected	_Z6kernelI18scatter_to_stripedN15benchmark_utils11custom_typeIddEELj256ELj4ELj100EEvPKT0_PKjPS4_ ; -- Begin function _Z6kernelI18scatter_to_stripedN15benchmark_utils11custom_typeIddEELj256ELj4ELj100EEvPKT0_PKjPS4_
	.globl	_Z6kernelI18scatter_to_stripedN15benchmark_utils11custom_typeIddEELj256ELj4ELj100EEvPKT0_PKjPS4_
	.p2align	8
	.type	_Z6kernelI18scatter_to_stripedN15benchmark_utils11custom_typeIddEELj256ELj4ELj100EEvPKT0_PKjPS4_,@function
_Z6kernelI18scatter_to_stripedN15benchmark_utils11custom_typeIddEELj256ELj4ELj100EEvPKT0_PKjPS4_: ; @_Z6kernelI18scatter_to_stripedN15benchmark_utils11custom_typeIddEELj256ELj4ELj100EEvPKT0_PKjPS4_
; %bb.0:
	s_load_b128 s[4:7], s[0:1], 0x0
	s_mov_b32 s9, 0
	s_lshl_b32 s8, s15, 10
	v_lshlrev_b32_e32 v17, 4, v0
	s_lshl_b64 s[2:3], s[8:9], 4
	v_lshlrev_b32_e32 v1, 2, v0
	s_load_b64 s[0:1], s[0:1], 0x10
	s_waitcnt lgkmcnt(0)
	s_add_u32 s4, s4, s2
	s_addc_u32 s5, s5, s3
	s_lshl_b64 s[8:9], s[8:9], 2
	s_delay_alu instid0(SALU_CYCLE_1) | instskip(SKIP_1) | instid1(VALU_DEP_1)
	s_add_u32 s6, s6, s8
	v_add_co_u32 v2, s8, s4, v17
	v_add_co_ci_u32_e64 v3, null, s5, 0, s8
	s_addc_u32 s7, s7, s9
	s_delay_alu instid0(VALU_DEP_2) | instskip(NEXT) | instid1(VALU_DEP_2)
	v_add_co_u32 v9, vcc_lo, v2, 0x2000
	v_add_co_ci_u32_e32 v10, vcc_lo, 0, v3, vcc_lo
	v_add_co_u32 v11, vcc_lo, 0x3000, v2
	s_clause 0x3
	global_load_b32 v18, v1, s[6:7]
	global_load_b32 v19, v1, s[6:7] offset:1024
	global_load_b32 v20, v1, s[6:7] offset:2048
	;; [unrolled: 1-line block ×3, first 2 shown]
	v_add_co_ci_u32_e32 v12, vcc_lo, 0, v3, vcc_lo
	s_clause 0x3
	global_load_b128 v[1:4], v17, s[4:5]
	global_load_b128 v[5:8], v[9:10], off offset:-4096
	global_load_b128 v[13:16], v[9:10], off
	global_load_b128 v[9:12], v[11:12], off
	s_movk_i32 s4, 0x64
	s_waitcnt vmcnt(7)
	v_lshlrev_b32_e32 v18, 4, v18
	s_waitcnt vmcnt(6)
	v_lshlrev_b32_e32 v19, 4, v19
	;; [unrolled: 2-line block ×4, first 2 shown]
	.p2align	6
.LBB177_1:                              ; =>This Inner Loop Header: Depth=1
	s_waitcnt vmcnt(3)
	ds_store_b128 v18, v[1:4]
	s_waitcnt vmcnt(2)
	ds_store_b128 v19, v[5:8]
	;; [unrolled: 2-line block ×4, first 2 shown]
	s_waitcnt lgkmcnt(0)
	s_barrier
	buffer_gl0_inv
	ds_load_b128 v[1:4], v17
	ds_load_b128 v[5:8], v17 offset:4096
	ds_load_b128 v[13:16], v17 offset:8192
	ds_load_b128 v[9:12], v17 offset:12288
	s_add_i32 s4, s4, -1
	s_waitcnt lgkmcnt(0)
	s_cmp_lg_u32 s4, 0
	s_barrier
	buffer_gl0_inv
	s_cbranch_scc1 .LBB177_1
; %bb.2:
	v_lshlrev_b32_e32 v0, 4, v0
	s_add_u32 s0, s0, s2
	s_addc_u32 s1, s1, s3
	s_delay_alu instid0(VALU_DEP_1) | instskip(NEXT) | instid1(VALU_DEP_1)
	v_add_co_u32 v19, s2, s0, v0
	v_add_co_ci_u32_e64 v20, null, s1, 0, s2
	s_delay_alu instid0(VALU_DEP_2) | instskip(NEXT) | instid1(VALU_DEP_2)
	v_add_co_u32 v17, vcc_lo, v19, 0x2000
	v_add_co_ci_u32_e32 v18, vcc_lo, 0, v20, vcc_lo
	v_add_co_u32 v19, vcc_lo, 0x3000, v19
	v_add_co_ci_u32_e32 v20, vcc_lo, 0, v20, vcc_lo
	s_clause 0x3
	global_store_b128 v[17:18], v[5:8], off offset:-4096
	global_store_b128 v[17:18], v[13:16], off
	global_store_b128 v0, v[1:4], s[0:1]
	global_store_b128 v[19:20], v[9:12], off
	s_nop 0
	s_sendmsg sendmsg(MSG_DEALLOC_VGPRS)
	s_endpgm
	.section	.rodata,"a",@progbits
	.p2align	6, 0x0
	.amdhsa_kernel _Z6kernelI18scatter_to_stripedN15benchmark_utils11custom_typeIddEELj256ELj4ELj100EEvPKT0_PKjPS4_
		.amdhsa_group_segment_fixed_size 16896
		.amdhsa_private_segment_fixed_size 0
		.amdhsa_kernarg_size 24
		.amdhsa_user_sgpr_count 15
		.amdhsa_user_sgpr_dispatch_ptr 0
		.amdhsa_user_sgpr_queue_ptr 0
		.amdhsa_user_sgpr_kernarg_segment_ptr 1
		.amdhsa_user_sgpr_dispatch_id 0
		.amdhsa_user_sgpr_private_segment_size 0
		.amdhsa_wavefront_size32 1
		.amdhsa_uses_dynamic_stack 0
		.amdhsa_enable_private_segment 0
		.amdhsa_system_sgpr_workgroup_id_x 1
		.amdhsa_system_sgpr_workgroup_id_y 0
		.amdhsa_system_sgpr_workgroup_id_z 0
		.amdhsa_system_sgpr_workgroup_info 0
		.amdhsa_system_vgpr_workitem_id 0
		.amdhsa_next_free_vgpr 22
		.amdhsa_next_free_sgpr 16
		.amdhsa_reserve_vcc 1
		.amdhsa_float_round_mode_32 0
		.amdhsa_float_round_mode_16_64 0
		.amdhsa_float_denorm_mode_32 3
		.amdhsa_float_denorm_mode_16_64 3
		.amdhsa_dx10_clamp 1
		.amdhsa_ieee_mode 1
		.amdhsa_fp16_overflow 0
		.amdhsa_workgroup_processor_mode 1
		.amdhsa_memory_ordered 1
		.amdhsa_forward_progress 0
		.amdhsa_shared_vgpr_count 0
		.amdhsa_exception_fp_ieee_invalid_op 0
		.amdhsa_exception_fp_denorm_src 0
		.amdhsa_exception_fp_ieee_div_zero 0
		.amdhsa_exception_fp_ieee_overflow 0
		.amdhsa_exception_fp_ieee_underflow 0
		.amdhsa_exception_fp_ieee_inexact 0
		.amdhsa_exception_int_div_zero 0
	.end_amdhsa_kernel
	.section	.text._Z6kernelI18scatter_to_stripedN15benchmark_utils11custom_typeIddEELj256ELj4ELj100EEvPKT0_PKjPS4_,"axG",@progbits,_Z6kernelI18scatter_to_stripedN15benchmark_utils11custom_typeIddEELj256ELj4ELj100EEvPKT0_PKjPS4_,comdat
.Lfunc_end177:
	.size	_Z6kernelI18scatter_to_stripedN15benchmark_utils11custom_typeIddEELj256ELj4ELj100EEvPKT0_PKjPS4_, .Lfunc_end177-_Z6kernelI18scatter_to_stripedN15benchmark_utils11custom_typeIddEELj256ELj4ELj100EEvPKT0_PKjPS4_
                                        ; -- End function
	.section	.AMDGPU.csdata,"",@progbits
; Kernel info:
; codeLenInByte = 464
; NumSgprs: 18
; NumVgprs: 22
; ScratchSize: 0
; MemoryBound: 0
; FloatMode: 240
; IeeeMode: 1
; LDSByteSize: 16896 bytes/workgroup (compile time only)
; SGPRBlocks: 2
; VGPRBlocks: 2
; NumSGPRsForWavesPerEU: 18
; NumVGPRsForWavesPerEU: 22
; Occupancy: 14
; WaveLimiterHint : 1
; COMPUTE_PGM_RSRC2:SCRATCH_EN: 0
; COMPUTE_PGM_RSRC2:USER_SGPR: 15
; COMPUTE_PGM_RSRC2:TRAP_HANDLER: 0
; COMPUTE_PGM_RSRC2:TGID_X_EN: 1
; COMPUTE_PGM_RSRC2:TGID_Y_EN: 0
; COMPUTE_PGM_RSRC2:TGID_Z_EN: 0
; COMPUTE_PGM_RSRC2:TIDIG_COMP_CNT: 0
	.section	.text._Z6kernelI18scatter_to_stripedN15benchmark_utils11custom_typeIddEELj256ELj7ELj100EEvPKT0_PKjPS4_,"axG",@progbits,_Z6kernelI18scatter_to_stripedN15benchmark_utils11custom_typeIddEELj256ELj7ELj100EEvPKT0_PKjPS4_,comdat
	.protected	_Z6kernelI18scatter_to_stripedN15benchmark_utils11custom_typeIddEELj256ELj7ELj100EEvPKT0_PKjPS4_ ; -- Begin function _Z6kernelI18scatter_to_stripedN15benchmark_utils11custom_typeIddEELj256ELj7ELj100EEvPKT0_PKjPS4_
	.globl	_Z6kernelI18scatter_to_stripedN15benchmark_utils11custom_typeIddEELj256ELj7ELj100EEvPKT0_PKjPS4_
	.p2align	8
	.type	_Z6kernelI18scatter_to_stripedN15benchmark_utils11custom_typeIddEELj256ELj7ELj100EEvPKT0_PKjPS4_,@function
_Z6kernelI18scatter_to_stripedN15benchmark_utils11custom_typeIddEELj256ELj7ELj100EEvPKT0_PKjPS4_: ; @_Z6kernelI18scatter_to_stripedN15benchmark_utils11custom_typeIddEELj256ELj7ELj100EEvPKT0_PKjPS4_
; %bb.0:
	s_load_b128 s[4:7], s[0:1], 0x0
	s_mov_b32 s9, 0
	s_mul_i32 s8, s15, 0x700
	v_lshlrev_b32_e32 v29, 4, v0
	s_lshl_b64 s[2:3], s[8:9], 4
	v_lshlrev_b32_e32 v7, 2, v0
	s_load_b64 s[0:1], s[0:1], 0x10
	s_waitcnt lgkmcnt(0)
	s_add_u32 s4, s4, s2
	s_addc_u32 s5, s5, s3
	v_add_co_u32 v5, s10, s4, v29
	s_delay_alu instid0(VALU_DEP_1) | instskip(SKIP_1) | instid1(VALU_DEP_2)
	v_add_co_ci_u32_e64 v6, null, s5, 0, s10
	s_lshl_b64 s[8:9], s[8:9], 2
	v_add_co_u32 v9, vcc_lo, v5, 0x2000
	global_load_b128 v[1:4], v29, s[4:5]
	s_add_u32 s4, s6, s8
	v_add_co_ci_u32_e32 v10, vcc_lo, 0, v6, vcc_lo
	v_add_co_u32 v13, vcc_lo, v5, 0x4000
	s_addc_u32 s5, s7, s9
	v_add_co_u32 v8, s6, s4, v7
	v_add_co_ci_u32_e32 v14, vcc_lo, 0, v6, vcc_lo
	v_add_co_ci_u32_e64 v11, null, s5, 0, s6
	v_add_co_u32 v15, vcc_lo, v5, 0x6000
	v_add_co_ci_u32_e32 v16, vcc_lo, 0, v6, vcc_lo
	v_add_co_u32 v5, vcc_lo, 0x1000, v8
	s_delay_alu instid0(VALU_DEP_4)
	v_add_co_ci_u32_e32 v6, vcc_lo, 0, v11, vcc_lo
	s_clause 0x6
	global_load_b32 v30, v7, s[4:5]
	global_load_b32 v31, v7, s[4:5] offset:1024
	global_load_b32 v32, v7, s[4:5] offset:2048
	;; [unrolled: 1-line block ×3, first 2 shown]
	global_load_b32 v34, v[5:6], off
	global_load_b32 v35, v[5:6], off offset:1024
	global_load_b32 v36, v[5:6], off offset:2048
	s_clause 0x5
	global_load_b128 v[5:8], v[9:10], off offset:-4096
	global_load_b128 v[9:12], v[9:10], off
	global_load_b128 v[17:20], v[13:14], off offset:-4096
	global_load_b128 v[25:28], v[13:14], off
	;; [unrolled: 2-line block ×3, first 2 shown]
	s_movk_i32 s4, 0x64
	s_waitcnt vmcnt(12)
	v_lshlrev_b32_e32 v30, 4, v30
	s_waitcnt vmcnt(11)
	v_lshlrev_b32_e32 v31, 4, v31
	;; [unrolled: 2-line block ×7, first 2 shown]
	s_set_inst_prefetch_distance 0x1
	.p2align	6
.LBB178_1:                              ; =>This Inner Loop Header: Depth=1
	ds_store_b128 v30, v[1:4]
	s_waitcnt vmcnt(5)
	ds_store_b128 v31, v[5:8]
	s_waitcnt vmcnt(4)
	;; [unrolled: 2-line block ×6, first 2 shown]
	ds_store_b128 v36, v[13:16]
	s_waitcnt lgkmcnt(0)
	s_barrier
	buffer_gl0_inv
	ds_load_b128 v[1:4], v29
	ds_load_b128 v[5:8], v29 offset:4096
	ds_load_b128 v[9:12], v29 offset:8192
	;; [unrolled: 1-line block ×6, first 2 shown]
	s_add_i32 s4, s4, -1
	s_waitcnt lgkmcnt(0)
	s_cmp_lg_u32 s4, 0
	s_barrier
	buffer_gl0_inv
	s_cbranch_scc1 .LBB178_1
; %bb.2:
	s_set_inst_prefetch_distance 0x2
	v_lshlrev_b32_e32 v0, 4, v0
	s_add_u32 s0, s0, s2
	s_addc_u32 s1, s1, s3
	s_delay_alu instid0(VALU_DEP_1) | instskip(NEXT) | instid1(VALU_DEP_1)
	v_add_co_u32 v33, s2, s0, v0
	v_add_co_ci_u32_e64 v34, null, s1, 0, s2
	s_delay_alu instid0(VALU_DEP_2) | instskip(NEXT) | instid1(VALU_DEP_2)
	v_add_co_u32 v29, vcc_lo, v33, 0x2000
	v_add_co_ci_u32_e32 v30, vcc_lo, 0, v34, vcc_lo
	v_add_co_u32 v31, vcc_lo, v33, 0x4000
	v_add_co_ci_u32_e32 v32, vcc_lo, 0, v34, vcc_lo
	;; [unrolled: 2-line block ×3, first 2 shown]
	s_clause 0x6
	global_store_b128 v0, v[1:4], s[0:1]
	global_store_b128 v[29:30], v[5:8], off offset:-4096
	global_store_b128 v[29:30], v[9:12], off
	global_store_b128 v[31:32], v[17:20], off offset:-4096
	global_store_b128 v[31:32], v[25:28], off
	global_store_b128 v[33:34], v[21:24], off offset:-4096
	global_store_b128 v[33:34], v[13:16], off
	s_nop 0
	s_sendmsg sendmsg(MSG_DEALLOC_VGPRS)
	s_endpgm
	.section	.rodata,"a",@progbits
	.p2align	6, 0x0
	.amdhsa_kernel _Z6kernelI18scatter_to_stripedN15benchmark_utils11custom_typeIddEELj256ELj7ELj100EEvPKT0_PKjPS4_
		.amdhsa_group_segment_fixed_size 28672
		.amdhsa_private_segment_fixed_size 0
		.amdhsa_kernarg_size 24
		.amdhsa_user_sgpr_count 15
		.amdhsa_user_sgpr_dispatch_ptr 0
		.amdhsa_user_sgpr_queue_ptr 0
		.amdhsa_user_sgpr_kernarg_segment_ptr 1
		.amdhsa_user_sgpr_dispatch_id 0
		.amdhsa_user_sgpr_private_segment_size 0
		.amdhsa_wavefront_size32 1
		.amdhsa_uses_dynamic_stack 0
		.amdhsa_enable_private_segment 0
		.amdhsa_system_sgpr_workgroup_id_x 1
		.amdhsa_system_sgpr_workgroup_id_y 0
		.amdhsa_system_sgpr_workgroup_id_z 0
		.amdhsa_system_sgpr_workgroup_info 0
		.amdhsa_system_vgpr_workitem_id 0
		.amdhsa_next_free_vgpr 37
		.amdhsa_next_free_sgpr 16
		.amdhsa_reserve_vcc 1
		.amdhsa_float_round_mode_32 0
		.amdhsa_float_round_mode_16_64 0
		.amdhsa_float_denorm_mode_32 3
		.amdhsa_float_denorm_mode_16_64 3
		.amdhsa_dx10_clamp 1
		.amdhsa_ieee_mode 1
		.amdhsa_fp16_overflow 0
		.amdhsa_workgroup_processor_mode 1
		.amdhsa_memory_ordered 1
		.amdhsa_forward_progress 0
		.amdhsa_shared_vgpr_count 0
		.amdhsa_exception_fp_ieee_invalid_op 0
		.amdhsa_exception_fp_denorm_src 0
		.amdhsa_exception_fp_ieee_div_zero 0
		.amdhsa_exception_fp_ieee_overflow 0
		.amdhsa_exception_fp_ieee_underflow 0
		.amdhsa_exception_fp_ieee_inexact 0
		.amdhsa_exception_int_div_zero 0
	.end_amdhsa_kernel
	.section	.text._Z6kernelI18scatter_to_stripedN15benchmark_utils11custom_typeIddEELj256ELj7ELj100EEvPKT0_PKjPS4_,"axG",@progbits,_Z6kernelI18scatter_to_stripedN15benchmark_utils11custom_typeIddEELj256ELj7ELj100EEvPKT0_PKjPS4_,comdat
.Lfunc_end178:
	.size	_Z6kernelI18scatter_to_stripedN15benchmark_utils11custom_typeIddEELj256ELj7ELj100EEvPKT0_PKjPS4_, .Lfunc_end178-_Z6kernelI18scatter_to_stripedN15benchmark_utils11custom_typeIddEELj256ELj7ELj100EEvPKT0_PKjPS4_
                                        ; -- End function
	.section	.AMDGPU.csdata,"",@progbits
; Kernel info:
; codeLenInByte = 692
; NumSgprs: 18
; NumVgprs: 37
; ScratchSize: 0
; MemoryBound: 1
; FloatMode: 240
; IeeeMode: 1
; LDSByteSize: 28672 bytes/workgroup (compile time only)
; SGPRBlocks: 2
; VGPRBlocks: 4
; NumSGPRsForWavesPerEU: 18
; NumVGPRsForWavesPerEU: 37
; Occupancy: 8
; WaveLimiterHint : 1
; COMPUTE_PGM_RSRC2:SCRATCH_EN: 0
; COMPUTE_PGM_RSRC2:USER_SGPR: 15
; COMPUTE_PGM_RSRC2:TRAP_HANDLER: 0
; COMPUTE_PGM_RSRC2:TGID_X_EN: 1
; COMPUTE_PGM_RSRC2:TGID_Y_EN: 0
; COMPUTE_PGM_RSRC2:TGID_Z_EN: 0
; COMPUTE_PGM_RSRC2:TIDIG_COMP_CNT: 0
	.section	.text._Z6kernelI18scatter_to_stripedN15benchmark_utils11custom_typeIddEELj256ELj8ELj100EEvPKT0_PKjPS4_,"axG",@progbits,_Z6kernelI18scatter_to_stripedN15benchmark_utils11custom_typeIddEELj256ELj8ELj100EEvPKT0_PKjPS4_,comdat
	.protected	_Z6kernelI18scatter_to_stripedN15benchmark_utils11custom_typeIddEELj256ELj8ELj100EEvPKT0_PKjPS4_ ; -- Begin function _Z6kernelI18scatter_to_stripedN15benchmark_utils11custom_typeIddEELj256ELj8ELj100EEvPKT0_PKjPS4_
	.globl	_Z6kernelI18scatter_to_stripedN15benchmark_utils11custom_typeIddEELj256ELj8ELj100EEvPKT0_PKjPS4_
	.p2align	8
	.type	_Z6kernelI18scatter_to_stripedN15benchmark_utils11custom_typeIddEELj256ELj8ELj100EEvPKT0_PKjPS4_,@function
_Z6kernelI18scatter_to_stripedN15benchmark_utils11custom_typeIddEELj256ELj8ELj100EEvPKT0_PKjPS4_: ; @_Z6kernelI18scatter_to_stripedN15benchmark_utils11custom_typeIddEELj256ELj8ELj100EEvPKT0_PKjPS4_
; %bb.0:
	s_load_b128 s[4:7], s[0:1], 0x0
	s_mov_b32 s9, 0
	s_lshl_b32 s8, s15, 11
	v_lshlrev_b32_e32 v33, 4, v0
	s_lshl_b64 s[2:3], s[8:9], 4
	v_lshlrev_b32_e32 v7, 2, v0
	s_load_b64 s[0:1], s[0:1], 0x10
	s_waitcnt lgkmcnt(0)
	s_add_u32 s4, s4, s2
	s_addc_u32 s5, s5, s3
	v_add_co_u32 v8, s10, s4, v33
	s_delay_alu instid0(VALU_DEP_1) | instskip(SKIP_1) | instid1(VALU_DEP_2)
	v_add_co_ci_u32_e64 v11, null, s5, 0, s10
	s_lshl_b64 s[8:9], s[8:9], 2
	v_add_co_u32 v5, vcc_lo, v8, 0x2000
	s_delay_alu instid0(VALU_DEP_2)
	v_add_co_ci_u32_e32 v6, vcc_lo, 0, v11, vcc_lo
	v_add_co_u32 v9, vcc_lo, v8, 0x4000
	global_load_b128 v[1:4], v33, s[4:5]
	s_add_u32 s4, s6, s8
	v_add_co_ci_u32_e32 v10, vcc_lo, 0, v11, vcc_lo
	v_add_co_u32 v17, vcc_lo, v8, 0x6000
	s_addc_u32 s5, s7, s9
	s_clause 0x1
	global_load_b128 v[29:32], v[5:6], off offset:-4096
	global_load_b128 v[25:28], v[5:6], off
	v_add_co_u32 v5, s6, s4, v7
	v_add_co_ci_u32_e32 v18, vcc_lo, 0, v11, vcc_lo
	v_add_co_ci_u32_e64 v6, null, s5, 0, s6
	v_add_co_u32 v19, vcc_lo, 0x7000, v8
	v_add_co_ci_u32_e32 v20, vcc_lo, 0, v11, vcc_lo
	v_add_co_u32 v5, vcc_lo, 0x1000, v5
	s_delay_alu instid0(VALU_DEP_4)
	v_add_co_ci_u32_e32 v6, vcc_lo, 0, v6, vcc_lo
	s_clause 0x7
	global_load_b32 v34, v7, s[4:5]
	global_load_b32 v35, v7, s[4:5] offset:1024
	global_load_b32 v36, v7, s[4:5] offset:2048
	;; [unrolled: 1-line block ×3, first 2 shown]
	global_load_b32 v38, v[5:6], off
	global_load_b32 v39, v[5:6], off offset:1024
	global_load_b32 v40, v[5:6], off offset:2048
	;; [unrolled: 1-line block ×3, first 2 shown]
	s_clause 0x4
	global_load_b128 v[5:8], v[9:10], off offset:-4096
	global_load_b128 v[9:12], v[9:10], off
	global_load_b128 v[13:16], v[17:18], off offset:-4096
	global_load_b128 v[21:24], v[17:18], off
	global_load_b128 v[17:20], v[19:20], off
	s_movk_i32 s4, 0x64
	s_waitcnt vmcnt(12)
	v_lshlrev_b32_e32 v34, 4, v34
	s_waitcnt vmcnt(11)
	v_lshlrev_b32_e32 v35, 4, v35
	;; [unrolled: 2-line block ×8, first 2 shown]
	s_set_inst_prefetch_distance 0x1
	.p2align	6
.LBB179_1:                              ; =>This Inner Loop Header: Depth=1
	ds_store_b128 v34, v[1:4]
	ds_store_b128 v35, v[29:32]
	;; [unrolled: 1-line block ×3, first 2 shown]
	s_waitcnt vmcnt(4)
	ds_store_b128 v37, v[5:8]
	s_waitcnt vmcnt(3)
	ds_store_b128 v38, v[9:12]
	;; [unrolled: 2-line block ×5, first 2 shown]
	s_waitcnt lgkmcnt(0)
	s_barrier
	buffer_gl0_inv
	ds_load_b128 v[1:4], v33
	ds_load_b128 v[29:32], v33 offset:4096
	ds_load_b128 v[25:28], v33 offset:8192
	;; [unrolled: 1-line block ×7, first 2 shown]
	s_add_i32 s4, s4, -1
	s_waitcnt lgkmcnt(0)
	s_cmp_lg_u32 s4, 0
	s_barrier
	buffer_gl0_inv
	s_cbranch_scc1 .LBB179_1
; %bb.2:
	s_set_inst_prefetch_distance 0x2
	v_lshlrev_b32_e32 v0, 4, v0
	s_add_u32 s0, s0, s2
	s_addc_u32 s1, s1, s3
	s_delay_alu instid0(VALU_DEP_1) | instskip(NEXT) | instid1(VALU_DEP_1)
	v_add_co_u32 v35, s2, s0, v0
	v_add_co_ci_u32_e64 v36, null, s1, 0, s2
	s_delay_alu instid0(VALU_DEP_2) | instskip(NEXT) | instid1(VALU_DEP_2)
	v_add_co_u32 v33, vcc_lo, v35, 0x2000
	v_add_co_ci_u32_e32 v34, vcc_lo, 0, v36, vcc_lo
	s_clause 0x1
	global_store_b128 v[33:34], v[29:32], off offset:-4096
	global_store_b128 v[33:34], v[25:28], off
	v_add_co_u32 v25, vcc_lo, v35, 0x4000
	v_add_co_ci_u32_e32 v26, vcc_lo, 0, v36, vcc_lo
	v_add_co_u32 v27, vcc_lo, v35, 0x6000
	v_add_co_ci_u32_e32 v28, vcc_lo, 0, v36, vcc_lo
	;; [unrolled: 2-line block ×3, first 2 shown]
	s_clause 0x5
	global_store_b128 v[25:26], v[5:8], off offset:-4096
	global_store_b128 v[25:26], v[9:12], off
	global_store_b128 v[27:28], v[13:16], off offset:-4096
	global_store_b128 v[27:28], v[21:24], off
	global_store_b128 v0, v[1:4], s[0:1]
	global_store_b128 v[29:30], v[17:20], off
	s_nop 0
	s_sendmsg sendmsg(MSG_DEALLOC_VGPRS)
	s_endpgm
	.section	.rodata,"a",@progbits
	.p2align	6, 0x0
	.amdhsa_kernel _Z6kernelI18scatter_to_stripedN15benchmark_utils11custom_typeIddEELj256ELj8ELj100EEvPKT0_PKjPS4_
		.amdhsa_group_segment_fixed_size 33792
		.amdhsa_private_segment_fixed_size 0
		.amdhsa_kernarg_size 24
		.amdhsa_user_sgpr_count 15
		.amdhsa_user_sgpr_dispatch_ptr 0
		.amdhsa_user_sgpr_queue_ptr 0
		.amdhsa_user_sgpr_kernarg_segment_ptr 1
		.amdhsa_user_sgpr_dispatch_id 0
		.amdhsa_user_sgpr_private_segment_size 0
		.amdhsa_wavefront_size32 1
		.amdhsa_uses_dynamic_stack 0
		.amdhsa_enable_private_segment 0
		.amdhsa_system_sgpr_workgroup_id_x 1
		.amdhsa_system_sgpr_workgroup_id_y 0
		.amdhsa_system_sgpr_workgroup_id_z 0
		.amdhsa_system_sgpr_workgroup_info 0
		.amdhsa_system_vgpr_workitem_id 0
		.amdhsa_next_free_vgpr 42
		.amdhsa_next_free_sgpr 16
		.amdhsa_reserve_vcc 1
		.amdhsa_float_round_mode_32 0
		.amdhsa_float_round_mode_16_64 0
		.amdhsa_float_denorm_mode_32 3
		.amdhsa_float_denorm_mode_16_64 3
		.amdhsa_dx10_clamp 1
		.amdhsa_ieee_mode 1
		.amdhsa_fp16_overflow 0
		.amdhsa_workgroup_processor_mode 1
		.amdhsa_memory_ordered 1
		.amdhsa_forward_progress 0
		.amdhsa_shared_vgpr_count 0
		.amdhsa_exception_fp_ieee_invalid_op 0
		.amdhsa_exception_fp_denorm_src 0
		.amdhsa_exception_fp_ieee_div_zero 0
		.amdhsa_exception_fp_ieee_overflow 0
		.amdhsa_exception_fp_ieee_underflow 0
		.amdhsa_exception_fp_ieee_inexact 0
		.amdhsa_exception_int_div_zero 0
	.end_amdhsa_kernel
	.section	.text._Z6kernelI18scatter_to_stripedN15benchmark_utils11custom_typeIddEELj256ELj8ELj100EEvPKT0_PKjPS4_,"axG",@progbits,_Z6kernelI18scatter_to_stripedN15benchmark_utils11custom_typeIddEELj256ELj8ELj100EEvPKT0_PKjPS4_,comdat
.Lfunc_end179:
	.size	_Z6kernelI18scatter_to_stripedN15benchmark_utils11custom_typeIddEELj256ELj8ELj100EEvPKT0_PKjPS4_, .Lfunc_end179-_Z6kernelI18scatter_to_stripedN15benchmark_utils11custom_typeIddEELj256ELj8ELj100EEvPKT0_PKjPS4_
                                        ; -- End function
	.section	.AMDGPU.csdata,"",@progbits
; Kernel info:
; codeLenInByte = 776
; NumSgprs: 18
; NumVgprs: 42
; ScratchSize: 0
; MemoryBound: 1
; FloatMode: 240
; IeeeMode: 1
; LDSByteSize: 33792 bytes/workgroup (compile time only)
; SGPRBlocks: 2
; VGPRBlocks: 5
; NumSGPRsForWavesPerEU: 18
; NumVGPRsForWavesPerEU: 42
; Occupancy: 6
; WaveLimiterHint : 1
; COMPUTE_PGM_RSRC2:SCRATCH_EN: 0
; COMPUTE_PGM_RSRC2:USER_SGPR: 15
; COMPUTE_PGM_RSRC2:TRAP_HANDLER: 0
; COMPUTE_PGM_RSRC2:TGID_X_EN: 1
; COMPUTE_PGM_RSRC2:TGID_Y_EN: 0
; COMPUTE_PGM_RSRC2:TGID_Z_EN: 0
; COMPUTE_PGM_RSRC2:TIDIG_COMP_CNT: 0
	.text
	.p2alignl 7, 3214868480
	.fill 96, 4, 3214868480
	.type	__hip_cuid_e9bbccb894a262d4,@object ; @__hip_cuid_e9bbccb894a262d4
	.section	.bss,"aw",@nobits
	.globl	__hip_cuid_e9bbccb894a262d4
__hip_cuid_e9bbccb894a262d4:
	.byte	0                               ; 0x0
	.size	__hip_cuid_e9bbccb894a262d4, 1

	.ident	"AMD clang version 19.0.0git (https://github.com/RadeonOpenCompute/llvm-project roc-6.4.0 25133 c7fe45cf4b819c5991fe208aaa96edf142730f1d)"
	.section	".note.GNU-stack","",@progbits
	.addrsig
	.addrsig_sym __hip_cuid_e9bbccb894a262d4
	.amdgpu_metadata
---
amdhsa.kernels:
  - .args:
      - .address_space:  global
        .offset:         0
        .size:           8
        .value_kind:     global_buffer
      - .address_space:  global
        .offset:         8
        .size:           8
        .value_kind:     global_buffer
      - .address_space:  global
        .offset:         16
        .size:           8
        .value_kind:     global_buffer
    .group_segment_fixed_size: 1024
    .kernarg_segment_align: 8
    .kernarg_segment_size: 24
    .language:       OpenCL C
    .language_version:
      - 2
      - 0
    .max_flat_workgroup_size: 256
    .name:           _Z6kernelI18blocked_to_stripediLj256ELj1ELj100EEvPKT0_PKjPS1_
    .private_segment_fixed_size: 0
    .sgpr_count:     16
    .sgpr_spill_count: 0
    .symbol:         _Z6kernelI18blocked_to_stripediLj256ELj1ELj100EEvPKT0_PKjPS1_.kd
    .uniform_work_group_size: 1
    .uses_dynamic_stack: false
    .vgpr_count:     3
    .vgpr_spill_count: 0
    .wavefront_size: 32
    .workgroup_processor_mode: 1
  - .args:
      - .address_space:  global
        .offset:         0
        .size:           8
        .value_kind:     global_buffer
      - .address_space:  global
        .offset:         8
        .size:           8
        .value_kind:     global_buffer
      - .address_space:  global
        .offset:         16
        .size:           8
        .value_kind:     global_buffer
    .group_segment_fixed_size: 2112
    .kernarg_segment_align: 8
    .kernarg_segment_size: 24
    .language:       OpenCL C
    .language_version:
      - 2
      - 0
    .max_flat_workgroup_size: 256
    .name:           _Z6kernelI18blocked_to_stripediLj256ELj2ELj100EEvPKT0_PKjPS1_
    .private_segment_fixed_size: 0
    .sgpr_count:     16
    .sgpr_spill_count: 0
    .symbol:         _Z6kernelI18blocked_to_stripediLj256ELj2ELj100EEvPKT0_PKjPS1_.kd
    .uniform_work_group_size: 1
    .uses_dynamic_stack: false
    .vgpr_count:     7
    .vgpr_spill_count: 0
    .wavefront_size: 32
    .workgroup_processor_mode: 1
  - .args:
      - .address_space:  global
        .offset:         0
        .size:           8
        .value_kind:     global_buffer
      - .address_space:  global
        .offset:         8
        .size:           8
        .value_kind:     global_buffer
      - .address_space:  global
        .offset:         16
        .size:           8
        .value_kind:     global_buffer
    .group_segment_fixed_size: 3072
    .kernarg_segment_align: 8
    .kernarg_segment_size: 24
    .language:       OpenCL C
    .language_version:
      - 2
      - 0
    .max_flat_workgroup_size: 256
    .name:           _Z6kernelI18blocked_to_stripediLj256ELj3ELj100EEvPKT0_PKjPS1_
    .private_segment_fixed_size: 0
    .sgpr_count:     16
    .sgpr_spill_count: 0
    .symbol:         _Z6kernelI18blocked_to_stripediLj256ELj3ELj100EEvPKT0_PKjPS1_.kd
    .uniform_work_group_size: 1
    .uses_dynamic_stack: false
    .vgpr_count:     6
    .vgpr_spill_count: 0
    .wavefront_size: 32
    .workgroup_processor_mode: 1
  - .args:
      - .address_space:  global
        .offset:         0
        .size:           8
        .value_kind:     global_buffer
      - .address_space:  global
        .offset:         8
        .size:           8
        .value_kind:     global_buffer
      - .address_space:  global
        .offset:         16
        .size:           8
        .value_kind:     global_buffer
    .group_segment_fixed_size: 4224
    .kernarg_segment_align: 8
    .kernarg_segment_size: 24
    .language:       OpenCL C
    .language_version:
      - 2
      - 0
    .max_flat_workgroup_size: 256
    .name:           _Z6kernelI18blocked_to_stripediLj256ELj4ELj100EEvPKT0_PKjPS1_
    .private_segment_fixed_size: 0
    .sgpr_count:     16
    .sgpr_spill_count: 0
    .symbol:         _Z6kernelI18blocked_to_stripediLj256ELj4ELj100EEvPKT0_PKjPS1_.kd
    .uniform_work_group_size: 1
    .uses_dynamic_stack: false
    .vgpr_count:     11
    .vgpr_spill_count: 0
    .wavefront_size: 32
    .workgroup_processor_mode: 1
  - .args:
      - .address_space:  global
        .offset:         0
        .size:           8
        .value_kind:     global_buffer
      - .address_space:  global
        .offset:         8
        .size:           8
        .value_kind:     global_buffer
      - .address_space:  global
        .offset:         16
        .size:           8
        .value_kind:     global_buffer
    .group_segment_fixed_size: 7168
    .kernarg_segment_align: 8
    .kernarg_segment_size: 24
    .language:       OpenCL C
    .language_version:
      - 2
      - 0
    .max_flat_workgroup_size: 256
    .name:           _Z6kernelI18blocked_to_stripediLj256ELj7ELj100EEvPKT0_PKjPS1_
    .private_segment_fixed_size: 0
    .sgpr_count:     18
    .sgpr_spill_count: 0
    .symbol:         _Z6kernelI18blocked_to_stripediLj256ELj7ELj100EEvPKT0_PKjPS1_.kd
    .uniform_work_group_size: 1
    .uses_dynamic_stack: false
    .vgpr_count:     10
    .vgpr_spill_count: 0
    .wavefront_size: 32
    .workgroup_processor_mode: 1
  - .args:
      - .address_space:  global
        .offset:         0
        .size:           8
        .value_kind:     global_buffer
      - .address_space:  global
        .offset:         8
        .size:           8
        .value_kind:     global_buffer
      - .address_space:  global
        .offset:         16
        .size:           8
        .value_kind:     global_buffer
    .group_segment_fixed_size: 8448
    .kernarg_segment_align: 8
    .kernarg_segment_size: 24
    .language:       OpenCL C
    .language_version:
      - 2
      - 0
    .max_flat_workgroup_size: 256
    .name:           _Z6kernelI18blocked_to_stripediLj256ELj8ELj100EEvPKT0_PKjPS1_
    .private_segment_fixed_size: 0
    .sgpr_count:     18
    .sgpr_spill_count: 0
    .symbol:         _Z6kernelI18blocked_to_stripediLj256ELj8ELj100EEvPKT0_PKjPS1_.kd
    .uniform_work_group_size: 1
    .uses_dynamic_stack: false
    .vgpr_count:     18
    .vgpr_spill_count: 0
    .wavefront_size: 32
    .workgroup_processor_mode: 1
  - .args:
      - .address_space:  global
        .offset:         0
        .size:           8
        .value_kind:     global_buffer
      - .address_space:  global
        .offset:         8
        .size:           8
        .value_kind:     global_buffer
      - .address_space:  global
        .offset:         16
        .size:           8
        .value_kind:     global_buffer
    .group_segment_fixed_size: 256
    .kernarg_segment_align: 8
    .kernarg_segment_size: 24
    .language:       OpenCL C
    .language_version:
      - 2
      - 0
    .max_flat_workgroup_size: 256
    .name:           _Z6kernelI18blocked_to_stripedaLj256ELj1ELj100EEvPKT0_PKjPS1_
    .private_segment_fixed_size: 0
    .sgpr_count:     16
    .sgpr_spill_count: 0
    .symbol:         _Z6kernelI18blocked_to_stripedaLj256ELj1ELj100EEvPKT0_PKjPS1_.kd
    .uniform_work_group_size: 1
    .uses_dynamic_stack: false
    .vgpr_count:     4
    .vgpr_spill_count: 0
    .wavefront_size: 32
    .workgroup_processor_mode: 1
  - .args:
      - .address_space:  global
        .offset:         0
        .size:           8
        .value_kind:     global_buffer
      - .address_space:  global
        .offset:         8
        .size:           8
        .value_kind:     global_buffer
      - .address_space:  global
        .offset:         16
        .size:           8
        .value_kind:     global_buffer
    .group_segment_fixed_size: 528
    .kernarg_segment_align: 8
    .kernarg_segment_size: 24
    .language:       OpenCL C
    .language_version:
      - 2
      - 0
    .max_flat_workgroup_size: 256
    .name:           _Z6kernelI18blocked_to_stripedaLj256ELj2ELj100EEvPKT0_PKjPS1_
    .private_segment_fixed_size: 0
    .sgpr_count:     16
    .sgpr_spill_count: 0
    .symbol:         _Z6kernelI18blocked_to_stripedaLj256ELj2ELj100EEvPKT0_PKjPS1_.kd
    .uniform_work_group_size: 1
    .uses_dynamic_stack: false
    .vgpr_count:     7
    .vgpr_spill_count: 0
    .wavefront_size: 32
    .workgroup_processor_mode: 1
  - .args:
      - .address_space:  global
        .offset:         0
        .size:           8
        .value_kind:     global_buffer
      - .address_space:  global
        .offset:         8
        .size:           8
        .value_kind:     global_buffer
      - .address_space:  global
        .offset:         16
        .size:           8
        .value_kind:     global_buffer
    .group_segment_fixed_size: 768
    .kernarg_segment_align: 8
    .kernarg_segment_size: 24
    .language:       OpenCL C
    .language_version:
      - 2
      - 0
    .max_flat_workgroup_size: 256
    .name:           _Z6kernelI18blocked_to_stripedaLj256ELj3ELj100EEvPKT0_PKjPS1_
    .private_segment_fixed_size: 0
    .sgpr_count:     16
    .sgpr_spill_count: 0
    .symbol:         _Z6kernelI18blocked_to_stripedaLj256ELj3ELj100EEvPKT0_PKjPS1_.kd
    .uniform_work_group_size: 1
    .uses_dynamic_stack: false
    .vgpr_count:     7
    .vgpr_spill_count: 0
    .wavefront_size: 32
    .workgroup_processor_mode: 1
  - .args:
      - .address_space:  global
        .offset:         0
        .size:           8
        .value_kind:     global_buffer
      - .address_space:  global
        .offset:         8
        .size:           8
        .value_kind:     global_buffer
      - .address_space:  global
        .offset:         16
        .size:           8
        .value_kind:     global_buffer
    .group_segment_fixed_size: 1056
    .kernarg_segment_align: 8
    .kernarg_segment_size: 24
    .language:       OpenCL C
    .language_version:
      - 2
      - 0
    .max_flat_workgroup_size: 256
    .name:           _Z6kernelI18blocked_to_stripedaLj256ELj4ELj100EEvPKT0_PKjPS1_
    .private_segment_fixed_size: 0
    .sgpr_count:     16
    .sgpr_spill_count: 0
    .symbol:         _Z6kernelI18blocked_to_stripedaLj256ELj4ELj100EEvPKT0_PKjPS1_.kd
    .uniform_work_group_size: 1
    .uses_dynamic_stack: false
    .vgpr_count:     12
    .vgpr_spill_count: 0
    .wavefront_size: 32
    .workgroup_processor_mode: 1
  - .args:
      - .address_space:  global
        .offset:         0
        .size:           8
        .value_kind:     global_buffer
      - .address_space:  global
        .offset:         8
        .size:           8
        .value_kind:     global_buffer
      - .address_space:  global
        .offset:         16
        .size:           8
        .value_kind:     global_buffer
    .group_segment_fixed_size: 1792
    .kernarg_segment_align: 8
    .kernarg_segment_size: 24
    .language:       OpenCL C
    .language_version:
      - 2
      - 0
    .max_flat_workgroup_size: 256
    .name:           _Z6kernelI18blocked_to_stripedaLj256ELj7ELj100EEvPKT0_PKjPS1_
    .private_segment_fixed_size: 0
    .sgpr_count:     16
    .sgpr_spill_count: 0
    .symbol:         _Z6kernelI18blocked_to_stripedaLj256ELj7ELj100EEvPKT0_PKjPS1_.kd
    .uniform_work_group_size: 1
    .uses_dynamic_stack: false
    .vgpr_count:     11
    .vgpr_spill_count: 0
    .wavefront_size: 32
    .workgroup_processor_mode: 1
  - .args:
      - .address_space:  global
        .offset:         0
        .size:           8
        .value_kind:     global_buffer
      - .address_space:  global
        .offset:         8
        .size:           8
        .value_kind:     global_buffer
      - .address_space:  global
        .offset:         16
        .size:           8
        .value_kind:     global_buffer
    .group_segment_fixed_size: 2112
    .kernarg_segment_align: 8
    .kernarg_segment_size: 24
    .language:       OpenCL C
    .language_version:
      - 2
      - 0
    .max_flat_workgroup_size: 256
    .name:           _Z6kernelI18blocked_to_stripedaLj256ELj8ELj100EEvPKT0_PKjPS1_
    .private_segment_fixed_size: 0
    .sgpr_count:     16
    .sgpr_spill_count: 0
    .symbol:         _Z6kernelI18blocked_to_stripedaLj256ELj8ELj100EEvPKT0_PKjPS1_.kd
    .uniform_work_group_size: 1
    .uses_dynamic_stack: false
    .vgpr_count:     22
    .vgpr_spill_count: 0
    .wavefront_size: 32
    .workgroup_processor_mode: 1
  - .args:
      - .address_space:  global
        .offset:         0
        .size:           8
        .value_kind:     global_buffer
      - .address_space:  global
        .offset:         8
        .size:           8
        .value_kind:     global_buffer
      - .address_space:  global
        .offset:         16
        .size:           8
        .value_kind:     global_buffer
    .group_segment_fixed_size: 2048
    .kernarg_segment_align: 8
    .kernarg_segment_size: 24
    .language:       OpenCL C
    .language_version:
      - 2
      - 0
    .max_flat_workgroup_size: 256
    .name:           _Z6kernelI18blocked_to_stripedxLj256ELj1ELj100EEvPKT0_PKjPS1_
    .private_segment_fixed_size: 0
    .sgpr_count:     16
    .sgpr_spill_count: 0
    .symbol:         _Z6kernelI18blocked_to_stripedxLj256ELj1ELj100EEvPKT0_PKjPS1_.kd
    .uniform_work_group_size: 1
    .uses_dynamic_stack: false
    .vgpr_count:     4
    .vgpr_spill_count: 0
    .wavefront_size: 32
    .workgroup_processor_mode: 1
  - .args:
      - .address_space:  global
        .offset:         0
        .size:           8
        .value_kind:     global_buffer
      - .address_space:  global
        .offset:         8
        .size:           8
        .value_kind:     global_buffer
      - .address_space:  global
        .offset:         16
        .size:           8
        .value_kind:     global_buffer
    .group_segment_fixed_size: 4224
    .kernarg_segment_align: 8
    .kernarg_segment_size: 24
    .language:       OpenCL C
    .language_version:
      - 2
      - 0
    .max_flat_workgroup_size: 256
    .name:           _Z6kernelI18blocked_to_stripedxLj256ELj2ELj100EEvPKT0_PKjPS1_
    .private_segment_fixed_size: 0
    .sgpr_count:     16
    .sgpr_spill_count: 0
    .symbol:         _Z6kernelI18blocked_to_stripedxLj256ELj2ELj100EEvPKT0_PKjPS1_.kd
    .uniform_work_group_size: 1
    .uses_dynamic_stack: false
    .vgpr_count:     9
    .vgpr_spill_count: 0
    .wavefront_size: 32
    .workgroup_processor_mode: 1
  - .args:
      - .address_space:  global
        .offset:         0
        .size:           8
        .value_kind:     global_buffer
      - .address_space:  global
        .offset:         8
        .size:           8
        .value_kind:     global_buffer
      - .address_space:  global
        .offset:         16
        .size:           8
        .value_kind:     global_buffer
    .group_segment_fixed_size: 6144
    .kernarg_segment_align: 8
    .kernarg_segment_size: 24
    .language:       OpenCL C
    .language_version:
      - 2
      - 0
    .max_flat_workgroup_size: 256
    .name:           _Z6kernelI18blocked_to_stripedxLj256ELj3ELj100EEvPKT0_PKjPS1_
    .private_segment_fixed_size: 0
    .sgpr_count:     18
    .sgpr_spill_count: 0
    .symbol:         _Z6kernelI18blocked_to_stripedxLj256ELj3ELj100EEvPKT0_PKjPS1_.kd
    .uniform_work_group_size: 1
    .uses_dynamic_stack: false
    .vgpr_count:     9
    .vgpr_spill_count: 0
    .wavefront_size: 32
    .workgroup_processor_mode: 1
  - .args:
      - .address_space:  global
        .offset:         0
        .size:           8
        .value_kind:     global_buffer
      - .address_space:  global
        .offset:         8
        .size:           8
        .value_kind:     global_buffer
      - .address_space:  global
        .offset:         16
        .size:           8
        .value_kind:     global_buffer
    .group_segment_fixed_size: 8448
    .kernarg_segment_align: 8
    .kernarg_segment_size: 24
    .language:       OpenCL C
    .language_version:
      - 2
      - 0
    .max_flat_workgroup_size: 256
    .name:           _Z6kernelI18blocked_to_stripedxLj256ELj4ELj100EEvPKT0_PKjPS1_
    .private_segment_fixed_size: 0
    .sgpr_count:     18
    .sgpr_spill_count: 0
    .symbol:         _Z6kernelI18blocked_to_stripedxLj256ELj4ELj100EEvPKT0_PKjPS1_.kd
    .uniform_work_group_size: 1
    .uses_dynamic_stack: false
    .vgpr_count:     18
    .vgpr_spill_count: 0
    .wavefront_size: 32
    .workgroup_processor_mode: 1
  - .args:
      - .address_space:  global
        .offset:         0
        .size:           8
        .value_kind:     global_buffer
      - .address_space:  global
        .offset:         8
        .size:           8
        .value_kind:     global_buffer
      - .address_space:  global
        .offset:         16
        .size:           8
        .value_kind:     global_buffer
    .group_segment_fixed_size: 14336
    .kernarg_segment_align: 8
    .kernarg_segment_size: 24
    .language:       OpenCL C
    .language_version:
      - 2
      - 0
    .max_flat_workgroup_size: 256
    .name:           _Z6kernelI18blocked_to_stripedxLj256ELj7ELj100EEvPKT0_PKjPS1_
    .private_segment_fixed_size: 0
    .sgpr_count:     18
    .sgpr_spill_count: 0
    .symbol:         _Z6kernelI18blocked_to_stripedxLj256ELj7ELj100EEvPKT0_PKjPS1_.kd
    .uniform_work_group_size: 1
    .uses_dynamic_stack: false
    .vgpr_count:     23
    .vgpr_spill_count: 0
    .wavefront_size: 32
    .workgroup_processor_mode: 1
  - .args:
      - .address_space:  global
        .offset:         0
        .size:           8
        .value_kind:     global_buffer
      - .address_space:  global
        .offset:         8
        .size:           8
        .value_kind:     global_buffer
      - .address_space:  global
        .offset:         16
        .size:           8
        .value_kind:     global_buffer
    .group_segment_fixed_size: 16896
    .kernarg_segment_align: 8
    .kernarg_segment_size: 24
    .language:       OpenCL C
    .language_version:
      - 2
      - 0
    .max_flat_workgroup_size: 256
    .name:           _Z6kernelI18blocked_to_stripedxLj256ELj8ELj100EEvPKT0_PKjPS1_
    .private_segment_fixed_size: 0
    .sgpr_count:     18
    .sgpr_spill_count: 0
    .symbol:         _Z6kernelI18blocked_to_stripedxLj256ELj8ELj100EEvPKT0_PKjPS1_.kd
    .uniform_work_group_size: 1
    .uses_dynamic_stack: false
    .vgpr_count:     26
    .vgpr_spill_count: 0
    .wavefront_size: 32
    .workgroup_processor_mode: 1
  - .args:
      - .address_space:  global
        .offset:         0
        .size:           8
        .value_kind:     global_buffer
      - .address_space:  global
        .offset:         8
        .size:           8
        .value_kind:     global_buffer
      - .address_space:  global
        .offset:         16
        .size:           8
        .value_kind:     global_buffer
    .group_segment_fixed_size: 2048
    .kernarg_segment_align: 8
    .kernarg_segment_size: 24
    .language:       OpenCL C
    .language_version:
      - 2
      - 0
    .max_flat_workgroup_size: 256
    .name:           _Z6kernelI18blocked_to_stripedN15benchmark_utils11custom_typeIffEELj256ELj1ELj100EEvPKT0_PKjPS4_
    .private_segment_fixed_size: 0
    .sgpr_count:     16
    .sgpr_spill_count: 0
    .symbol:         _Z6kernelI18blocked_to_stripedN15benchmark_utils11custom_typeIffEELj256ELj1ELj100EEvPKT0_PKjPS4_.kd
    .uniform_work_group_size: 1
    .uses_dynamic_stack: false
    .vgpr_count:     4
    .vgpr_spill_count: 0
    .wavefront_size: 32
    .workgroup_processor_mode: 1
  - .args:
      - .address_space:  global
        .offset:         0
        .size:           8
        .value_kind:     global_buffer
      - .address_space:  global
        .offset:         8
        .size:           8
        .value_kind:     global_buffer
      - .address_space:  global
        .offset:         16
        .size:           8
        .value_kind:     global_buffer
    .group_segment_fixed_size: 4224
    .kernarg_segment_align: 8
    .kernarg_segment_size: 24
    .language:       OpenCL C
    .language_version:
      - 2
      - 0
    .max_flat_workgroup_size: 256
    .name:           _Z6kernelI18blocked_to_stripedN15benchmark_utils11custom_typeIffEELj256ELj2ELj100EEvPKT0_PKjPS4_
    .private_segment_fixed_size: 0
    .sgpr_count:     16
    .sgpr_spill_count: 0
    .symbol:         _Z6kernelI18blocked_to_stripedN15benchmark_utils11custom_typeIffEELj256ELj2ELj100EEvPKT0_PKjPS4_.kd
    .uniform_work_group_size: 1
    .uses_dynamic_stack: false
    .vgpr_count:     9
    .vgpr_spill_count: 0
    .wavefront_size: 32
    .workgroup_processor_mode: 1
  - .args:
      - .address_space:  global
        .offset:         0
        .size:           8
        .value_kind:     global_buffer
      - .address_space:  global
        .offset:         8
        .size:           8
        .value_kind:     global_buffer
      - .address_space:  global
        .offset:         16
        .size:           8
        .value_kind:     global_buffer
    .group_segment_fixed_size: 6144
    .kernarg_segment_align: 8
    .kernarg_segment_size: 24
    .language:       OpenCL C
    .language_version:
      - 2
      - 0
    .max_flat_workgroup_size: 256
    .name:           _Z6kernelI18blocked_to_stripedN15benchmark_utils11custom_typeIffEELj256ELj3ELj100EEvPKT0_PKjPS4_
    .private_segment_fixed_size: 0
    .sgpr_count:     18
    .sgpr_spill_count: 0
    .symbol:         _Z6kernelI18blocked_to_stripedN15benchmark_utils11custom_typeIffEELj256ELj3ELj100EEvPKT0_PKjPS4_.kd
    .uniform_work_group_size: 1
    .uses_dynamic_stack: false
    .vgpr_count:     9
    .vgpr_spill_count: 0
    .wavefront_size: 32
    .workgroup_processor_mode: 1
  - .args:
      - .address_space:  global
        .offset:         0
        .size:           8
        .value_kind:     global_buffer
      - .address_space:  global
        .offset:         8
        .size:           8
        .value_kind:     global_buffer
      - .address_space:  global
        .offset:         16
        .size:           8
        .value_kind:     global_buffer
    .group_segment_fixed_size: 8448
    .kernarg_segment_align: 8
    .kernarg_segment_size: 24
    .language:       OpenCL C
    .language_version:
      - 2
      - 0
    .max_flat_workgroup_size: 256
    .name:           _Z6kernelI18blocked_to_stripedN15benchmark_utils11custom_typeIffEELj256ELj4ELj100EEvPKT0_PKjPS4_
    .private_segment_fixed_size: 0
    .sgpr_count:     18
    .sgpr_spill_count: 0
    .symbol:         _Z6kernelI18blocked_to_stripedN15benchmark_utils11custom_typeIffEELj256ELj4ELj100EEvPKT0_PKjPS4_.kd
    .uniform_work_group_size: 1
    .uses_dynamic_stack: false
    .vgpr_count:     18
    .vgpr_spill_count: 0
    .wavefront_size: 32
    .workgroup_processor_mode: 1
  - .args:
      - .address_space:  global
        .offset:         0
        .size:           8
        .value_kind:     global_buffer
      - .address_space:  global
        .offset:         8
        .size:           8
        .value_kind:     global_buffer
      - .address_space:  global
        .offset:         16
        .size:           8
        .value_kind:     global_buffer
    .group_segment_fixed_size: 14336
    .kernarg_segment_align: 8
    .kernarg_segment_size: 24
    .language:       OpenCL C
    .language_version:
      - 2
      - 0
    .max_flat_workgroup_size: 256
    .name:           _Z6kernelI18blocked_to_stripedN15benchmark_utils11custom_typeIffEELj256ELj7ELj100EEvPKT0_PKjPS4_
    .private_segment_fixed_size: 0
    .sgpr_count:     18
    .sgpr_spill_count: 0
    .symbol:         _Z6kernelI18blocked_to_stripedN15benchmark_utils11custom_typeIffEELj256ELj7ELj100EEvPKT0_PKjPS4_.kd
    .uniform_work_group_size: 1
    .uses_dynamic_stack: false
    .vgpr_count:     23
    .vgpr_spill_count: 0
    .wavefront_size: 32
    .workgroup_processor_mode: 1
  - .args:
      - .address_space:  global
        .offset:         0
        .size:           8
        .value_kind:     global_buffer
      - .address_space:  global
        .offset:         8
        .size:           8
        .value_kind:     global_buffer
      - .address_space:  global
        .offset:         16
        .size:           8
        .value_kind:     global_buffer
    .group_segment_fixed_size: 16896
    .kernarg_segment_align: 8
    .kernarg_segment_size: 24
    .language:       OpenCL C
    .language_version:
      - 2
      - 0
    .max_flat_workgroup_size: 256
    .name:           _Z6kernelI18blocked_to_stripedN15benchmark_utils11custom_typeIffEELj256ELj8ELj100EEvPKT0_PKjPS4_
    .private_segment_fixed_size: 0
    .sgpr_count:     18
    .sgpr_spill_count: 0
    .symbol:         _Z6kernelI18blocked_to_stripedN15benchmark_utils11custom_typeIffEELj256ELj8ELj100EEvPKT0_PKjPS4_.kd
    .uniform_work_group_size: 1
    .uses_dynamic_stack: false
    .vgpr_count:     26
    .vgpr_spill_count: 0
    .wavefront_size: 32
    .workgroup_processor_mode: 1
  - .args:
      - .address_space:  global
        .offset:         0
        .size:           8
        .value_kind:     global_buffer
      - .address_space:  global
        .offset:         8
        .size:           8
        .value_kind:     global_buffer
      - .address_space:  global
        .offset:         16
        .size:           8
        .value_kind:     global_buffer
    .group_segment_fixed_size: 4096
    .kernarg_segment_align: 8
    .kernarg_segment_size: 24
    .language:       OpenCL C
    .language_version:
      - 2
      - 0
    .max_flat_workgroup_size: 256
    .name:           _Z6kernelI18blocked_to_stripedN15benchmark_utils11custom_typeIddEELj256ELj1ELj100EEvPKT0_PKjPS4_
    .private_segment_fixed_size: 0
    .sgpr_count:     16
    .sgpr_spill_count: 0
    .symbol:         _Z6kernelI18blocked_to_stripedN15benchmark_utils11custom_typeIddEELj256ELj1ELj100EEvPKT0_PKjPS4_.kd
    .uniform_work_group_size: 1
    .uses_dynamic_stack: false
    .vgpr_count:     6
    .vgpr_spill_count: 0
    .wavefront_size: 32
    .workgroup_processor_mode: 1
  - .args:
      - .address_space:  global
        .offset:         0
        .size:           8
        .value_kind:     global_buffer
      - .address_space:  global
        .offset:         8
        .size:           8
        .value_kind:     global_buffer
      - .address_space:  global
        .offset:         16
        .size:           8
        .value_kind:     global_buffer
    .group_segment_fixed_size: 8448
    .kernarg_segment_align: 8
    .kernarg_segment_size: 24
    .language:       OpenCL C
    .language_version:
      - 2
      - 0
    .max_flat_workgroup_size: 256
    .name:           _Z6kernelI18blocked_to_stripedN15benchmark_utils11custom_typeIddEELj256ELj2ELj100EEvPKT0_PKjPS4_
    .private_segment_fixed_size: 0
    .sgpr_count:     18
    .sgpr_spill_count: 0
    .symbol:         _Z6kernelI18blocked_to_stripedN15benchmark_utils11custom_typeIddEELj256ELj2ELj100EEvPKT0_PKjPS4_.kd
    .uniform_work_group_size: 1
    .uses_dynamic_stack: false
    .vgpr_count:     14
    .vgpr_spill_count: 0
    .wavefront_size: 32
    .workgroup_processor_mode: 1
  - .args:
      - .address_space:  global
        .offset:         0
        .size:           8
        .value_kind:     global_buffer
      - .address_space:  global
        .offset:         8
        .size:           8
        .value_kind:     global_buffer
      - .address_space:  global
        .offset:         16
        .size:           8
        .value_kind:     global_buffer
    .group_segment_fixed_size: 12288
    .kernarg_segment_align: 8
    .kernarg_segment_size: 24
    .language:       OpenCL C
    .language_version:
      - 2
      - 0
    .max_flat_workgroup_size: 256
    .name:           _Z6kernelI18blocked_to_stripedN15benchmark_utils11custom_typeIddEELj256ELj3ELj100EEvPKT0_PKjPS4_
    .private_segment_fixed_size: 0
    .sgpr_count:     18
    .sgpr_spill_count: 0
    .symbol:         _Z6kernelI18blocked_to_stripedN15benchmark_utils11custom_typeIddEELj256ELj3ELj100EEvPKT0_PKjPS4_.kd
    .uniform_work_group_size: 1
    .uses_dynamic_stack: false
    .vgpr_count:     15
    .vgpr_spill_count: 0
    .wavefront_size: 32
    .workgroup_processor_mode: 1
  - .args:
      - .address_space:  global
        .offset:         0
        .size:           8
        .value_kind:     global_buffer
      - .address_space:  global
        .offset:         8
        .size:           8
        .value_kind:     global_buffer
      - .address_space:  global
        .offset:         16
        .size:           8
        .value_kind:     global_buffer
    .group_segment_fixed_size: 16896
    .kernarg_segment_align: 8
    .kernarg_segment_size: 24
    .language:       OpenCL C
    .language_version:
      - 2
      - 0
    .max_flat_workgroup_size: 256
    .name:           _Z6kernelI18blocked_to_stripedN15benchmark_utils11custom_typeIddEELj256ELj4ELj100EEvPKT0_PKjPS4_
    .private_segment_fixed_size: 0
    .sgpr_count:     18
    .sgpr_spill_count: 0
    .symbol:         _Z6kernelI18blocked_to_stripedN15benchmark_utils11custom_typeIddEELj256ELj4ELj100EEvPKT0_PKjPS4_.kd
    .uniform_work_group_size: 1
    .uses_dynamic_stack: false
    .vgpr_count:     23
    .vgpr_spill_count: 0
    .wavefront_size: 32
    .workgroup_processor_mode: 1
  - .args:
      - .address_space:  global
        .offset:         0
        .size:           8
        .value_kind:     global_buffer
      - .address_space:  global
        .offset:         8
        .size:           8
        .value_kind:     global_buffer
      - .address_space:  global
        .offset:         16
        .size:           8
        .value_kind:     global_buffer
    .group_segment_fixed_size: 28672
    .kernarg_segment_align: 8
    .kernarg_segment_size: 24
    .language:       OpenCL C
    .language_version:
      - 2
      - 0
    .max_flat_workgroup_size: 256
    .name:           _Z6kernelI18blocked_to_stripedN15benchmark_utils11custom_typeIddEELj256ELj7ELj100EEvPKT0_PKjPS4_
    .private_segment_fixed_size: 0
    .sgpr_count:     18
    .sgpr_spill_count: 0
    .symbol:         _Z6kernelI18blocked_to_stripedN15benchmark_utils11custom_typeIddEELj256ELj7ELj100EEvPKT0_PKjPS4_.kd
    .uniform_work_group_size: 1
    .uses_dynamic_stack: false
    .vgpr_count:     35
    .vgpr_spill_count: 0
    .wavefront_size: 32
    .workgroup_processor_mode: 1
  - .args:
      - .address_space:  global
        .offset:         0
        .size:           8
        .value_kind:     global_buffer
      - .address_space:  global
        .offset:         8
        .size:           8
        .value_kind:     global_buffer
      - .address_space:  global
        .offset:         16
        .size:           8
        .value_kind:     global_buffer
    .group_segment_fixed_size: 33792
    .kernarg_segment_align: 8
    .kernarg_segment_size: 24
    .language:       OpenCL C
    .language_version:
      - 2
      - 0
    .max_flat_workgroup_size: 256
    .name:           _Z6kernelI18blocked_to_stripedN15benchmark_utils11custom_typeIddEELj256ELj8ELj100EEvPKT0_PKjPS4_
    .private_segment_fixed_size: 0
    .sgpr_count:     18
    .sgpr_spill_count: 0
    .symbol:         _Z6kernelI18blocked_to_stripedN15benchmark_utils11custom_typeIddEELj256ELj8ELj100EEvPKT0_PKjPS4_.kd
    .uniform_work_group_size: 1
    .uses_dynamic_stack: false
    .vgpr_count:     42
    .vgpr_spill_count: 0
    .wavefront_size: 32
    .workgroup_processor_mode: 1
  - .args:
      - .address_space:  global
        .offset:         0
        .size:           8
        .value_kind:     global_buffer
      - .address_space:  global
        .offset:         8
        .size:           8
        .value_kind:     global_buffer
      - .address_space:  global
        .offset:         16
        .size:           8
        .value_kind:     global_buffer
    .group_segment_fixed_size: 1024
    .kernarg_segment_align: 8
    .kernarg_segment_size: 24
    .language:       OpenCL C
    .language_version:
      - 2
      - 0
    .max_flat_workgroup_size: 256
    .name:           _Z6kernelI18striped_to_blockediLj256ELj1ELj100EEvPKT0_PKjPS1_
    .private_segment_fixed_size: 0
    .sgpr_count:     16
    .sgpr_spill_count: 0
    .symbol:         _Z6kernelI18striped_to_blockediLj256ELj1ELj100EEvPKT0_PKjPS1_.kd
    .uniform_work_group_size: 1
    .uses_dynamic_stack: false
    .vgpr_count:     3
    .vgpr_spill_count: 0
    .wavefront_size: 32
    .workgroup_processor_mode: 1
  - .args:
      - .address_space:  global
        .offset:         0
        .size:           8
        .value_kind:     global_buffer
      - .address_space:  global
        .offset:         8
        .size:           8
        .value_kind:     global_buffer
      - .address_space:  global
        .offset:         16
        .size:           8
        .value_kind:     global_buffer
    .group_segment_fixed_size: 2112
    .kernarg_segment_align: 8
    .kernarg_segment_size: 24
    .language:       OpenCL C
    .language_version:
      - 2
      - 0
    .max_flat_workgroup_size: 256
    .name:           _Z6kernelI18striped_to_blockediLj256ELj2ELj100EEvPKT0_PKjPS1_
    .private_segment_fixed_size: 0
    .sgpr_count:     16
    .sgpr_spill_count: 0
    .symbol:         _Z6kernelI18striped_to_blockediLj256ELj2ELj100EEvPKT0_PKjPS1_.kd
    .uniform_work_group_size: 1
    .uses_dynamic_stack: false
    .vgpr_count:     8
    .vgpr_spill_count: 0
    .wavefront_size: 32
    .workgroup_processor_mode: 1
  - .args:
      - .address_space:  global
        .offset:         0
        .size:           8
        .value_kind:     global_buffer
      - .address_space:  global
        .offset:         8
        .size:           8
        .value_kind:     global_buffer
      - .address_space:  global
        .offset:         16
        .size:           8
        .value_kind:     global_buffer
    .group_segment_fixed_size: 3072
    .kernarg_segment_align: 8
    .kernarg_segment_size: 24
    .language:       OpenCL C
    .language_version:
      - 2
      - 0
    .max_flat_workgroup_size: 256
    .name:           _Z6kernelI18striped_to_blockediLj256ELj3ELj100EEvPKT0_PKjPS1_
    .private_segment_fixed_size: 0
    .sgpr_count:     16
    .sgpr_spill_count: 0
    .symbol:         _Z6kernelI18striped_to_blockediLj256ELj3ELj100EEvPKT0_PKjPS1_.kd
    .uniform_work_group_size: 1
    .uses_dynamic_stack: false
    .vgpr_count:     6
    .vgpr_spill_count: 0
    .wavefront_size: 32
    .workgroup_processor_mode: 1
  - .args:
      - .address_space:  global
        .offset:         0
        .size:           8
        .value_kind:     global_buffer
      - .address_space:  global
        .offset:         8
        .size:           8
        .value_kind:     global_buffer
      - .address_space:  global
        .offset:         16
        .size:           8
        .value_kind:     global_buffer
    .group_segment_fixed_size: 4224
    .kernarg_segment_align: 8
    .kernarg_segment_size: 24
    .language:       OpenCL C
    .language_version:
      - 2
      - 0
    .max_flat_workgroup_size: 256
    .name:           _Z6kernelI18striped_to_blockediLj256ELj4ELj100EEvPKT0_PKjPS1_
    .private_segment_fixed_size: 0
    .sgpr_count:     16
    .sgpr_spill_count: 0
    .symbol:         _Z6kernelI18striped_to_blockediLj256ELj4ELj100EEvPKT0_PKjPS1_.kd
    .uniform_work_group_size: 1
    .uses_dynamic_stack: false
    .vgpr_count:     13
    .vgpr_spill_count: 0
    .wavefront_size: 32
    .workgroup_processor_mode: 1
  - .args:
      - .address_space:  global
        .offset:         0
        .size:           8
        .value_kind:     global_buffer
      - .address_space:  global
        .offset:         8
        .size:           8
        .value_kind:     global_buffer
      - .address_space:  global
        .offset:         16
        .size:           8
        .value_kind:     global_buffer
    .group_segment_fixed_size: 7168
    .kernarg_segment_align: 8
    .kernarg_segment_size: 24
    .language:       OpenCL C
    .language_version:
      - 2
      - 0
    .max_flat_workgroup_size: 256
    .name:           _Z6kernelI18striped_to_blockediLj256ELj7ELj100EEvPKT0_PKjPS1_
    .private_segment_fixed_size: 0
    .sgpr_count:     18
    .sgpr_spill_count: 0
    .symbol:         _Z6kernelI18striped_to_blockediLj256ELj7ELj100EEvPKT0_PKjPS1_.kd
    .uniform_work_group_size: 1
    .uses_dynamic_stack: false
    .vgpr_count:     11
    .vgpr_spill_count: 0
    .wavefront_size: 32
    .workgroup_processor_mode: 1
  - .args:
      - .address_space:  global
        .offset:         0
        .size:           8
        .value_kind:     global_buffer
      - .address_space:  global
        .offset:         8
        .size:           8
        .value_kind:     global_buffer
      - .address_space:  global
        .offset:         16
        .size:           8
        .value_kind:     global_buffer
    .group_segment_fixed_size: 8448
    .kernarg_segment_align: 8
    .kernarg_segment_size: 24
    .language:       OpenCL C
    .language_version:
      - 2
      - 0
    .max_flat_workgroup_size: 256
    .name:           _Z6kernelI18striped_to_blockediLj256ELj8ELj100EEvPKT0_PKjPS1_
    .private_segment_fixed_size: 0
    .sgpr_count:     18
    .sgpr_spill_count: 0
    .symbol:         _Z6kernelI18striped_to_blockediLj256ELj8ELj100EEvPKT0_PKjPS1_.kd
    .uniform_work_group_size: 1
    .uses_dynamic_stack: false
    .vgpr_count:     20
    .vgpr_spill_count: 0
    .wavefront_size: 32
    .workgroup_processor_mode: 1
  - .args:
      - .address_space:  global
        .offset:         0
        .size:           8
        .value_kind:     global_buffer
      - .address_space:  global
        .offset:         8
        .size:           8
        .value_kind:     global_buffer
      - .address_space:  global
        .offset:         16
        .size:           8
        .value_kind:     global_buffer
    .group_segment_fixed_size: 256
    .kernarg_segment_align: 8
    .kernarg_segment_size: 24
    .language:       OpenCL C
    .language_version:
      - 2
      - 0
    .max_flat_workgroup_size: 256
    .name:           _Z6kernelI18striped_to_blockedaLj256ELj1ELj100EEvPKT0_PKjPS1_
    .private_segment_fixed_size: 0
    .sgpr_count:     16
    .sgpr_spill_count: 0
    .symbol:         _Z6kernelI18striped_to_blockedaLj256ELj1ELj100EEvPKT0_PKjPS1_.kd
    .uniform_work_group_size: 1
    .uses_dynamic_stack: false
    .vgpr_count:     4
    .vgpr_spill_count: 0
    .wavefront_size: 32
    .workgroup_processor_mode: 1
  - .args:
      - .address_space:  global
        .offset:         0
        .size:           8
        .value_kind:     global_buffer
      - .address_space:  global
        .offset:         8
        .size:           8
        .value_kind:     global_buffer
      - .address_space:  global
        .offset:         16
        .size:           8
        .value_kind:     global_buffer
    .group_segment_fixed_size: 528
    .kernarg_segment_align: 8
    .kernarg_segment_size: 24
    .language:       OpenCL C
    .language_version:
      - 2
      - 0
    .max_flat_workgroup_size: 256
    .name:           _Z6kernelI18striped_to_blockedaLj256ELj2ELj100EEvPKT0_PKjPS1_
    .private_segment_fixed_size: 0
    .sgpr_count:     16
    .sgpr_spill_count: 0
    .symbol:         _Z6kernelI18striped_to_blockedaLj256ELj2ELj100EEvPKT0_PKjPS1_.kd
    .uniform_work_group_size: 1
    .uses_dynamic_stack: false
    .vgpr_count:     7
    .vgpr_spill_count: 0
    .wavefront_size: 32
    .workgroup_processor_mode: 1
  - .args:
      - .address_space:  global
        .offset:         0
        .size:           8
        .value_kind:     global_buffer
      - .address_space:  global
        .offset:         8
        .size:           8
        .value_kind:     global_buffer
      - .address_space:  global
        .offset:         16
        .size:           8
        .value_kind:     global_buffer
    .group_segment_fixed_size: 768
    .kernarg_segment_align: 8
    .kernarg_segment_size: 24
    .language:       OpenCL C
    .language_version:
      - 2
      - 0
    .max_flat_workgroup_size: 256
    .name:           _Z6kernelI18striped_to_blockedaLj256ELj3ELj100EEvPKT0_PKjPS1_
    .private_segment_fixed_size: 0
    .sgpr_count:     16
    .sgpr_spill_count: 0
    .symbol:         _Z6kernelI18striped_to_blockedaLj256ELj3ELj100EEvPKT0_PKjPS1_.kd
    .uniform_work_group_size: 1
    .uses_dynamic_stack: false
    .vgpr_count:     6
    .vgpr_spill_count: 0
    .wavefront_size: 32
    .workgroup_processor_mode: 1
  - .args:
      - .address_space:  global
        .offset:         0
        .size:           8
        .value_kind:     global_buffer
      - .address_space:  global
        .offset:         8
        .size:           8
        .value_kind:     global_buffer
      - .address_space:  global
        .offset:         16
        .size:           8
        .value_kind:     global_buffer
    .group_segment_fixed_size: 1056
    .kernarg_segment_align: 8
    .kernarg_segment_size: 24
    .language:       OpenCL C
    .language_version:
      - 2
      - 0
    .max_flat_workgroup_size: 256
    .name:           _Z6kernelI18striped_to_blockedaLj256ELj4ELj100EEvPKT0_PKjPS1_
    .private_segment_fixed_size: 0
    .sgpr_count:     16
    .sgpr_spill_count: 0
    .symbol:         _Z6kernelI18striped_to_blockedaLj256ELj4ELj100EEvPKT0_PKjPS1_.kd
    .uniform_work_group_size: 1
    .uses_dynamic_stack: false
    .vgpr_count:     11
    .vgpr_spill_count: 0
    .wavefront_size: 32
    .workgroup_processor_mode: 1
  - .args:
      - .address_space:  global
        .offset:         0
        .size:           8
        .value_kind:     global_buffer
      - .address_space:  global
        .offset:         8
        .size:           8
        .value_kind:     global_buffer
      - .address_space:  global
        .offset:         16
        .size:           8
        .value_kind:     global_buffer
    .group_segment_fixed_size: 1792
    .kernarg_segment_align: 8
    .kernarg_segment_size: 24
    .language:       OpenCL C
    .language_version:
      - 2
      - 0
    .max_flat_workgroup_size: 256
    .name:           _Z6kernelI18striped_to_blockedaLj256ELj7ELj100EEvPKT0_PKjPS1_
    .private_segment_fixed_size: 0
    .sgpr_count:     16
    .sgpr_spill_count: 0
    .symbol:         _Z6kernelI18striped_to_blockedaLj256ELj7ELj100EEvPKT0_PKjPS1_.kd
    .uniform_work_group_size: 1
    .uses_dynamic_stack: false
    .vgpr_count:     8
    .vgpr_spill_count: 0
    .wavefront_size: 32
    .workgroup_processor_mode: 1
  - .args:
      - .address_space:  global
        .offset:         0
        .size:           8
        .value_kind:     global_buffer
      - .address_space:  global
        .offset:         8
        .size:           8
        .value_kind:     global_buffer
      - .address_space:  global
        .offset:         16
        .size:           8
        .value_kind:     global_buffer
    .group_segment_fixed_size: 2112
    .kernarg_segment_align: 8
    .kernarg_segment_size: 24
    .language:       OpenCL C
    .language_version:
      - 2
      - 0
    .max_flat_workgroup_size: 256
    .name:           _Z6kernelI18striped_to_blockedaLj256ELj8ELj100EEvPKT0_PKjPS1_
    .private_segment_fixed_size: 0
    .sgpr_count:     16
    .sgpr_spill_count: 0
    .symbol:         _Z6kernelI18striped_to_blockedaLj256ELj8ELj100EEvPKT0_PKjPS1_.kd
    .uniform_work_group_size: 1
    .uses_dynamic_stack: false
    .vgpr_count:     22
    .vgpr_spill_count: 0
    .wavefront_size: 32
    .workgroup_processor_mode: 1
  - .args:
      - .address_space:  global
        .offset:         0
        .size:           8
        .value_kind:     global_buffer
      - .address_space:  global
        .offset:         8
        .size:           8
        .value_kind:     global_buffer
      - .address_space:  global
        .offset:         16
        .size:           8
        .value_kind:     global_buffer
    .group_segment_fixed_size: 2048
    .kernarg_segment_align: 8
    .kernarg_segment_size: 24
    .language:       OpenCL C
    .language_version:
      - 2
      - 0
    .max_flat_workgroup_size: 256
    .name:           _Z6kernelI18striped_to_blockedxLj256ELj1ELj100EEvPKT0_PKjPS1_
    .private_segment_fixed_size: 0
    .sgpr_count:     16
    .sgpr_spill_count: 0
    .symbol:         _Z6kernelI18striped_to_blockedxLj256ELj1ELj100EEvPKT0_PKjPS1_.kd
    .uniform_work_group_size: 1
    .uses_dynamic_stack: false
    .vgpr_count:     4
    .vgpr_spill_count: 0
    .wavefront_size: 32
    .workgroup_processor_mode: 1
  - .args:
      - .address_space:  global
        .offset:         0
        .size:           8
        .value_kind:     global_buffer
      - .address_space:  global
        .offset:         8
        .size:           8
        .value_kind:     global_buffer
      - .address_space:  global
        .offset:         16
        .size:           8
        .value_kind:     global_buffer
    .group_segment_fixed_size: 4224
    .kernarg_segment_align: 8
    .kernarg_segment_size: 24
    .language:       OpenCL C
    .language_version:
      - 2
      - 0
    .max_flat_workgroup_size: 256
    .name:           _Z6kernelI18striped_to_blockedxLj256ELj2ELj100EEvPKT0_PKjPS1_
    .private_segment_fixed_size: 0
    .sgpr_count:     16
    .sgpr_spill_count: 0
    .symbol:         _Z6kernelI18striped_to_blockedxLj256ELj2ELj100EEvPKT0_PKjPS1_.kd
    .uniform_work_group_size: 1
    .uses_dynamic_stack: false
    .vgpr_count:     10
    .vgpr_spill_count: 0
    .wavefront_size: 32
    .workgroup_processor_mode: 1
  - .args:
      - .address_space:  global
        .offset:         0
        .size:           8
        .value_kind:     global_buffer
      - .address_space:  global
        .offset:         8
        .size:           8
        .value_kind:     global_buffer
      - .address_space:  global
        .offset:         16
        .size:           8
        .value_kind:     global_buffer
    .group_segment_fixed_size: 6144
    .kernarg_segment_align: 8
    .kernarg_segment_size: 24
    .language:       OpenCL C
    .language_version:
      - 2
      - 0
    .max_flat_workgroup_size: 256
    .name:           _Z6kernelI18striped_to_blockedxLj256ELj3ELj100EEvPKT0_PKjPS1_
    .private_segment_fixed_size: 0
    .sgpr_count:     18
    .sgpr_spill_count: 0
    .symbol:         _Z6kernelI18striped_to_blockedxLj256ELj3ELj100EEvPKT0_PKjPS1_.kd
    .uniform_work_group_size: 1
    .uses_dynamic_stack: false
    .vgpr_count:     9
    .vgpr_spill_count: 0
    .wavefront_size: 32
    .workgroup_processor_mode: 1
  - .args:
      - .address_space:  global
        .offset:         0
        .size:           8
        .value_kind:     global_buffer
      - .address_space:  global
        .offset:         8
        .size:           8
        .value_kind:     global_buffer
      - .address_space:  global
        .offset:         16
        .size:           8
        .value_kind:     global_buffer
    .group_segment_fixed_size: 8448
    .kernarg_segment_align: 8
    .kernarg_segment_size: 24
    .language:       OpenCL C
    .language_version:
      - 2
      - 0
    .max_flat_workgroup_size: 256
    .name:           _Z6kernelI18striped_to_blockedxLj256ELj4ELj100EEvPKT0_PKjPS1_
    .private_segment_fixed_size: 0
    .sgpr_count:     18
    .sgpr_spill_count: 0
    .symbol:         _Z6kernelI18striped_to_blockedxLj256ELj4ELj100EEvPKT0_PKjPS1_.kd
    .uniform_work_group_size: 1
    .uses_dynamic_stack: false
    .vgpr_count:     18
    .vgpr_spill_count: 0
    .wavefront_size: 32
    .workgroup_processor_mode: 1
  - .args:
      - .address_space:  global
        .offset:         0
        .size:           8
        .value_kind:     global_buffer
      - .address_space:  global
        .offset:         8
        .size:           8
        .value_kind:     global_buffer
      - .address_space:  global
        .offset:         16
        .size:           8
        .value_kind:     global_buffer
    .group_segment_fixed_size: 14336
    .kernarg_segment_align: 8
    .kernarg_segment_size: 24
    .language:       OpenCL C
    .language_version:
      - 2
      - 0
    .max_flat_workgroup_size: 256
    .name:           _Z6kernelI18striped_to_blockedxLj256ELj7ELj100EEvPKT0_PKjPS1_
    .private_segment_fixed_size: 0
    .sgpr_count:     18
    .sgpr_spill_count: 0
    .symbol:         _Z6kernelI18striped_to_blockedxLj256ELj7ELj100EEvPKT0_PKjPS1_.kd
    .uniform_work_group_size: 1
    .uses_dynamic_stack: false
    .vgpr_count:     18
    .vgpr_spill_count: 0
    .wavefront_size: 32
    .workgroup_processor_mode: 1
  - .args:
      - .address_space:  global
        .offset:         0
        .size:           8
        .value_kind:     global_buffer
      - .address_space:  global
        .offset:         8
        .size:           8
        .value_kind:     global_buffer
      - .address_space:  global
        .offset:         16
        .size:           8
        .value_kind:     global_buffer
    .group_segment_fixed_size: 16896
    .kernarg_segment_align: 8
    .kernarg_segment_size: 24
    .language:       OpenCL C
    .language_version:
      - 2
      - 0
    .max_flat_workgroup_size: 256
    .name:           _Z6kernelI18striped_to_blockedxLj256ELj8ELj100EEvPKT0_PKjPS1_
    .private_segment_fixed_size: 0
    .sgpr_count:     18
    .sgpr_spill_count: 0
    .symbol:         _Z6kernelI18striped_to_blockedxLj256ELj8ELj100EEvPKT0_PKjPS1_.kd
    .uniform_work_group_size: 1
    .uses_dynamic_stack: false
    .vgpr_count:     27
    .vgpr_spill_count: 0
    .wavefront_size: 32
    .workgroup_processor_mode: 1
  - .args:
      - .address_space:  global
        .offset:         0
        .size:           8
        .value_kind:     global_buffer
      - .address_space:  global
        .offset:         8
        .size:           8
        .value_kind:     global_buffer
      - .address_space:  global
        .offset:         16
        .size:           8
        .value_kind:     global_buffer
    .group_segment_fixed_size: 2048
    .kernarg_segment_align: 8
    .kernarg_segment_size: 24
    .language:       OpenCL C
    .language_version:
      - 2
      - 0
    .max_flat_workgroup_size: 256
    .name:           _Z6kernelI18striped_to_blockedN15benchmark_utils11custom_typeIffEELj256ELj1ELj100EEvPKT0_PKjPS4_
    .private_segment_fixed_size: 0
    .sgpr_count:     16
    .sgpr_spill_count: 0
    .symbol:         _Z6kernelI18striped_to_blockedN15benchmark_utils11custom_typeIffEELj256ELj1ELj100EEvPKT0_PKjPS4_.kd
    .uniform_work_group_size: 1
    .uses_dynamic_stack: false
    .vgpr_count:     4
    .vgpr_spill_count: 0
    .wavefront_size: 32
    .workgroup_processor_mode: 1
  - .args:
      - .address_space:  global
        .offset:         0
        .size:           8
        .value_kind:     global_buffer
      - .address_space:  global
        .offset:         8
        .size:           8
        .value_kind:     global_buffer
      - .address_space:  global
        .offset:         16
        .size:           8
        .value_kind:     global_buffer
    .group_segment_fixed_size: 4224
    .kernarg_segment_align: 8
    .kernarg_segment_size: 24
    .language:       OpenCL C
    .language_version:
      - 2
      - 0
    .max_flat_workgroup_size: 256
    .name:           _Z6kernelI18striped_to_blockedN15benchmark_utils11custom_typeIffEELj256ELj2ELj100EEvPKT0_PKjPS4_
    .private_segment_fixed_size: 0
    .sgpr_count:     16
    .sgpr_spill_count: 0
    .symbol:         _Z6kernelI18striped_to_blockedN15benchmark_utils11custom_typeIffEELj256ELj2ELj100EEvPKT0_PKjPS4_.kd
    .uniform_work_group_size: 1
    .uses_dynamic_stack: false
    .vgpr_count:     10
    .vgpr_spill_count: 0
    .wavefront_size: 32
    .workgroup_processor_mode: 1
  - .args:
      - .address_space:  global
        .offset:         0
        .size:           8
        .value_kind:     global_buffer
      - .address_space:  global
        .offset:         8
        .size:           8
        .value_kind:     global_buffer
      - .address_space:  global
        .offset:         16
        .size:           8
        .value_kind:     global_buffer
    .group_segment_fixed_size: 6144
    .kernarg_segment_align: 8
    .kernarg_segment_size: 24
    .language:       OpenCL C
    .language_version:
      - 2
      - 0
    .max_flat_workgroup_size: 256
    .name:           _Z6kernelI18striped_to_blockedN15benchmark_utils11custom_typeIffEELj256ELj3ELj100EEvPKT0_PKjPS4_
    .private_segment_fixed_size: 0
    .sgpr_count:     18
    .sgpr_spill_count: 0
    .symbol:         _Z6kernelI18striped_to_blockedN15benchmark_utils11custom_typeIffEELj256ELj3ELj100EEvPKT0_PKjPS4_.kd
    .uniform_work_group_size: 1
    .uses_dynamic_stack: false
    .vgpr_count:     9
    .vgpr_spill_count: 0
    .wavefront_size: 32
    .workgroup_processor_mode: 1
  - .args:
      - .address_space:  global
        .offset:         0
        .size:           8
        .value_kind:     global_buffer
      - .address_space:  global
        .offset:         8
        .size:           8
        .value_kind:     global_buffer
      - .address_space:  global
        .offset:         16
        .size:           8
        .value_kind:     global_buffer
    .group_segment_fixed_size: 8448
    .kernarg_segment_align: 8
    .kernarg_segment_size: 24
    .language:       OpenCL C
    .language_version:
      - 2
      - 0
    .max_flat_workgroup_size: 256
    .name:           _Z6kernelI18striped_to_blockedN15benchmark_utils11custom_typeIffEELj256ELj4ELj100EEvPKT0_PKjPS4_
    .private_segment_fixed_size: 0
    .sgpr_count:     18
    .sgpr_spill_count: 0
    .symbol:         _Z6kernelI18striped_to_blockedN15benchmark_utils11custom_typeIffEELj256ELj4ELj100EEvPKT0_PKjPS4_.kd
    .uniform_work_group_size: 1
    .uses_dynamic_stack: false
    .vgpr_count:     18
    .vgpr_spill_count: 0
    .wavefront_size: 32
    .workgroup_processor_mode: 1
  - .args:
      - .address_space:  global
        .offset:         0
        .size:           8
        .value_kind:     global_buffer
      - .address_space:  global
        .offset:         8
        .size:           8
        .value_kind:     global_buffer
      - .address_space:  global
        .offset:         16
        .size:           8
        .value_kind:     global_buffer
    .group_segment_fixed_size: 14336
    .kernarg_segment_align: 8
    .kernarg_segment_size: 24
    .language:       OpenCL C
    .language_version:
      - 2
      - 0
    .max_flat_workgroup_size: 256
    .name:           _Z6kernelI18striped_to_blockedN15benchmark_utils11custom_typeIffEELj256ELj7ELj100EEvPKT0_PKjPS4_
    .private_segment_fixed_size: 0
    .sgpr_count:     18
    .sgpr_spill_count: 0
    .symbol:         _Z6kernelI18striped_to_blockedN15benchmark_utils11custom_typeIffEELj256ELj7ELj100EEvPKT0_PKjPS4_.kd
    .uniform_work_group_size: 1
    .uses_dynamic_stack: false
    .vgpr_count:     18
    .vgpr_spill_count: 0
    .wavefront_size: 32
    .workgroup_processor_mode: 1
  - .args:
      - .address_space:  global
        .offset:         0
        .size:           8
        .value_kind:     global_buffer
      - .address_space:  global
        .offset:         8
        .size:           8
        .value_kind:     global_buffer
      - .address_space:  global
        .offset:         16
        .size:           8
        .value_kind:     global_buffer
    .group_segment_fixed_size: 16896
    .kernarg_segment_align: 8
    .kernarg_segment_size: 24
    .language:       OpenCL C
    .language_version:
      - 2
      - 0
    .max_flat_workgroup_size: 256
    .name:           _Z6kernelI18striped_to_blockedN15benchmark_utils11custom_typeIffEELj256ELj8ELj100EEvPKT0_PKjPS4_
    .private_segment_fixed_size: 0
    .sgpr_count:     18
    .sgpr_spill_count: 0
    .symbol:         _Z6kernelI18striped_to_blockedN15benchmark_utils11custom_typeIffEELj256ELj8ELj100EEvPKT0_PKjPS4_.kd
    .uniform_work_group_size: 1
    .uses_dynamic_stack: false
    .vgpr_count:     27
    .vgpr_spill_count: 0
    .wavefront_size: 32
    .workgroup_processor_mode: 1
  - .args:
      - .address_space:  global
        .offset:         0
        .size:           8
        .value_kind:     global_buffer
      - .address_space:  global
        .offset:         8
        .size:           8
        .value_kind:     global_buffer
      - .address_space:  global
        .offset:         16
        .size:           8
        .value_kind:     global_buffer
    .group_segment_fixed_size: 4096
    .kernarg_segment_align: 8
    .kernarg_segment_size: 24
    .language:       OpenCL C
    .language_version:
      - 2
      - 0
    .max_flat_workgroup_size: 256
    .name:           _Z6kernelI18striped_to_blockedN15benchmark_utils11custom_typeIddEELj256ELj1ELj100EEvPKT0_PKjPS4_
    .private_segment_fixed_size: 0
    .sgpr_count:     16
    .sgpr_spill_count: 0
    .symbol:         _Z6kernelI18striped_to_blockedN15benchmark_utils11custom_typeIddEELj256ELj1ELj100EEvPKT0_PKjPS4_.kd
    .uniform_work_group_size: 1
    .uses_dynamic_stack: false
    .vgpr_count:     6
    .vgpr_spill_count: 0
    .wavefront_size: 32
    .workgroup_processor_mode: 1
  - .args:
      - .address_space:  global
        .offset:         0
        .size:           8
        .value_kind:     global_buffer
      - .address_space:  global
        .offset:         8
        .size:           8
        .value_kind:     global_buffer
      - .address_space:  global
        .offset:         16
        .size:           8
        .value_kind:     global_buffer
    .group_segment_fixed_size: 8448
    .kernarg_segment_align: 8
    .kernarg_segment_size: 24
    .language:       OpenCL C
    .language_version:
      - 2
      - 0
    .max_flat_workgroup_size: 256
    .name:           _Z6kernelI18striped_to_blockedN15benchmark_utils11custom_typeIddEELj256ELj2ELj100EEvPKT0_PKjPS4_
    .private_segment_fixed_size: 0
    .sgpr_count:     18
    .sgpr_spill_count: 0
    .symbol:         _Z6kernelI18striped_to_blockedN15benchmark_utils11custom_typeIddEELj256ELj2ELj100EEvPKT0_PKjPS4_.kd
    .uniform_work_group_size: 1
    .uses_dynamic_stack: false
    .vgpr_count:     14
    .vgpr_spill_count: 0
    .wavefront_size: 32
    .workgroup_processor_mode: 1
  - .args:
      - .address_space:  global
        .offset:         0
        .size:           8
        .value_kind:     global_buffer
      - .address_space:  global
        .offset:         8
        .size:           8
        .value_kind:     global_buffer
      - .address_space:  global
        .offset:         16
        .size:           8
        .value_kind:     global_buffer
    .group_segment_fixed_size: 12288
    .kernarg_segment_align: 8
    .kernarg_segment_size: 24
    .language:       OpenCL C
    .language_version:
      - 2
      - 0
    .max_flat_workgroup_size: 256
    .name:           _Z6kernelI18striped_to_blockedN15benchmark_utils11custom_typeIddEELj256ELj3ELj100EEvPKT0_PKjPS4_
    .private_segment_fixed_size: 0
    .sgpr_count:     18
    .sgpr_spill_count: 0
    .symbol:         _Z6kernelI18striped_to_blockedN15benchmark_utils11custom_typeIddEELj256ELj3ELj100EEvPKT0_PKjPS4_.kd
    .uniform_work_group_size: 1
    .uses_dynamic_stack: false
    .vgpr_count:     15
    .vgpr_spill_count: 0
    .wavefront_size: 32
    .workgroup_processor_mode: 1
  - .args:
      - .address_space:  global
        .offset:         0
        .size:           8
        .value_kind:     global_buffer
      - .address_space:  global
        .offset:         8
        .size:           8
        .value_kind:     global_buffer
      - .address_space:  global
        .offset:         16
        .size:           8
        .value_kind:     global_buffer
    .group_segment_fixed_size: 16896
    .kernarg_segment_align: 8
    .kernarg_segment_size: 24
    .language:       OpenCL C
    .language_version:
      - 2
      - 0
    .max_flat_workgroup_size: 256
    .name:           _Z6kernelI18striped_to_blockedN15benchmark_utils11custom_typeIddEELj256ELj4ELj100EEvPKT0_PKjPS4_
    .private_segment_fixed_size: 0
    .sgpr_count:     18
    .sgpr_spill_count: 0
    .symbol:         _Z6kernelI18striped_to_blockedN15benchmark_utils11custom_typeIddEELj256ELj4ELj100EEvPKT0_PKjPS4_.kd
    .uniform_work_group_size: 1
    .uses_dynamic_stack: false
    .vgpr_count:     26
    .vgpr_spill_count: 0
    .wavefront_size: 32
    .workgroup_processor_mode: 1
  - .args:
      - .address_space:  global
        .offset:         0
        .size:           8
        .value_kind:     global_buffer
      - .address_space:  global
        .offset:         8
        .size:           8
        .value_kind:     global_buffer
      - .address_space:  global
        .offset:         16
        .size:           8
        .value_kind:     global_buffer
    .group_segment_fixed_size: 28672
    .kernarg_segment_align: 8
    .kernarg_segment_size: 24
    .language:       OpenCL C
    .language_version:
      - 2
      - 0
    .max_flat_workgroup_size: 256
    .name:           _Z6kernelI18striped_to_blockedN15benchmark_utils11custom_typeIddEELj256ELj7ELj100EEvPKT0_PKjPS4_
    .private_segment_fixed_size: 0
    .sgpr_count:     18
    .sgpr_spill_count: 0
    .symbol:         _Z6kernelI18striped_to_blockedN15benchmark_utils11custom_typeIddEELj256ELj7ELj100EEvPKT0_PKjPS4_.kd
    .uniform_work_group_size: 1
    .uses_dynamic_stack: false
    .vgpr_count:     31
    .vgpr_spill_count: 0
    .wavefront_size: 32
    .workgroup_processor_mode: 1
  - .args:
      - .address_space:  global
        .offset:         0
        .size:           8
        .value_kind:     global_buffer
      - .address_space:  global
        .offset:         8
        .size:           8
        .value_kind:     global_buffer
      - .address_space:  global
        .offset:         16
        .size:           8
        .value_kind:     global_buffer
    .group_segment_fixed_size: 33792
    .kernarg_segment_align: 8
    .kernarg_segment_size: 24
    .language:       OpenCL C
    .language_version:
      - 2
      - 0
    .max_flat_workgroup_size: 256
    .name:           _Z6kernelI18striped_to_blockedN15benchmark_utils11custom_typeIddEELj256ELj8ELj100EEvPKT0_PKjPS4_
    .private_segment_fixed_size: 0
    .sgpr_count:     18
    .sgpr_spill_count: 0
    .symbol:         _Z6kernelI18striped_to_blockedN15benchmark_utils11custom_typeIddEELj256ELj8ELj100EEvPKT0_PKjPS4_.kd
    .uniform_work_group_size: 1
    .uses_dynamic_stack: false
    .vgpr_count:     44
    .vgpr_spill_count: 0
    .wavefront_size: 32
    .workgroup_processor_mode: 1
  - .args:
      - .address_space:  global
        .offset:         0
        .size:           8
        .value_kind:     global_buffer
      - .address_space:  global
        .offset:         8
        .size:           8
        .value_kind:     global_buffer
      - .address_space:  global
        .offset:         16
        .size:           8
        .value_kind:     global_buffer
    .group_segment_fixed_size: 1024
    .kernarg_segment_align: 8
    .kernarg_segment_size: 24
    .language:       OpenCL C
    .language_version:
      - 2
      - 0
    .max_flat_workgroup_size: 256
    .name:           _Z6kernelI23blocked_to_warp_stripediLj256ELj1ELj100EEvPKT0_PKjPS1_
    .private_segment_fixed_size: 0
    .sgpr_count:     18
    .sgpr_spill_count: 0
    .symbol:         _Z6kernelI23blocked_to_warp_stripediLj256ELj1ELj100EEvPKT0_PKjPS1_.kd
    .uniform_work_group_size: 1
    .uses_dynamic_stack: false
    .vgpr_count:     4
    .vgpr_spill_count: 0
    .wavefront_size: 32
    .workgroup_processor_mode: 1
  - .args:
      - .address_space:  global
        .offset:         0
        .size:           8
        .value_kind:     global_buffer
      - .address_space:  global
        .offset:         8
        .size:           8
        .value_kind:     global_buffer
      - .address_space:  global
        .offset:         16
        .size:           8
        .value_kind:     global_buffer
    .group_segment_fixed_size: 2112
    .kernarg_segment_align: 8
    .kernarg_segment_size: 24
    .language:       OpenCL C
    .language_version:
      - 2
      - 0
    .max_flat_workgroup_size: 256
    .name:           _Z6kernelI23blocked_to_warp_stripediLj256ELj2ELj100EEvPKT0_PKjPS1_
    .private_segment_fixed_size: 0
    .sgpr_count:     18
    .sgpr_spill_count: 0
    .symbol:         _Z6kernelI23blocked_to_warp_stripediLj256ELj2ELj100EEvPKT0_PKjPS1_.kd
    .uniform_work_group_size: 1
    .uses_dynamic_stack: false
    .vgpr_count:     9
    .vgpr_spill_count: 0
    .wavefront_size: 32
    .workgroup_processor_mode: 1
  - .args:
      - .address_space:  global
        .offset:         0
        .size:           8
        .value_kind:     global_buffer
      - .address_space:  global
        .offset:         8
        .size:           8
        .value_kind:     global_buffer
      - .address_space:  global
        .offset:         16
        .size:           8
        .value_kind:     global_buffer
    .group_segment_fixed_size: 3072
    .kernarg_segment_align: 8
    .kernarg_segment_size: 24
    .language:       OpenCL C
    .language_version:
      - 2
      - 0
    .max_flat_workgroup_size: 256
    .name:           _Z6kernelI23blocked_to_warp_stripediLj256ELj3ELj100EEvPKT0_PKjPS1_
    .private_segment_fixed_size: 0
    .sgpr_count:     18
    .sgpr_spill_count: 0
    .symbol:         _Z6kernelI23blocked_to_warp_stripediLj256ELj3ELj100EEvPKT0_PKjPS1_.kd
    .uniform_work_group_size: 1
    .uses_dynamic_stack: false
    .vgpr_count:     8
    .vgpr_spill_count: 0
    .wavefront_size: 32
    .workgroup_processor_mode: 1
  - .args:
      - .address_space:  global
        .offset:         0
        .size:           8
        .value_kind:     global_buffer
      - .address_space:  global
        .offset:         8
        .size:           8
        .value_kind:     global_buffer
      - .address_space:  global
        .offset:         16
        .size:           8
        .value_kind:     global_buffer
    .group_segment_fixed_size: 4224
    .kernarg_segment_align: 8
    .kernarg_segment_size: 24
    .language:       OpenCL C
    .language_version:
      - 2
      - 0
    .max_flat_workgroup_size: 256
    .name:           _Z6kernelI23blocked_to_warp_stripediLj256ELj4ELj100EEvPKT0_PKjPS1_
    .private_segment_fixed_size: 0
    .sgpr_count:     18
    .sgpr_spill_count: 0
    .symbol:         _Z6kernelI23blocked_to_warp_stripediLj256ELj4ELj100EEvPKT0_PKjPS1_.kd
    .uniform_work_group_size: 1
    .uses_dynamic_stack: false
    .vgpr_count:     13
    .vgpr_spill_count: 0
    .wavefront_size: 32
    .workgroup_processor_mode: 1
  - .args:
      - .address_space:  global
        .offset:         0
        .size:           8
        .value_kind:     global_buffer
      - .address_space:  global
        .offset:         8
        .size:           8
        .value_kind:     global_buffer
      - .address_space:  global
        .offset:         16
        .size:           8
        .value_kind:     global_buffer
    .group_segment_fixed_size: 7168
    .kernarg_segment_align: 8
    .kernarg_segment_size: 24
    .language:       OpenCL C
    .language_version:
      - 2
      - 0
    .max_flat_workgroup_size: 256
    .name:           _Z6kernelI23blocked_to_warp_stripediLj256ELj7ELj100EEvPKT0_PKjPS1_
    .private_segment_fixed_size: 0
    .sgpr_count:     18
    .sgpr_spill_count: 0
    .symbol:         _Z6kernelI23blocked_to_warp_stripediLj256ELj7ELj100EEvPKT0_PKjPS1_.kd
    .uniform_work_group_size: 1
    .uses_dynamic_stack: false
    .vgpr_count:     12
    .vgpr_spill_count: 0
    .wavefront_size: 32
    .workgroup_processor_mode: 1
  - .args:
      - .address_space:  global
        .offset:         0
        .size:           8
        .value_kind:     global_buffer
      - .address_space:  global
        .offset:         8
        .size:           8
        .value_kind:     global_buffer
      - .address_space:  global
        .offset:         16
        .size:           8
        .value_kind:     global_buffer
    .group_segment_fixed_size: 8448
    .kernarg_segment_align: 8
    .kernarg_segment_size: 24
    .language:       OpenCL C
    .language_version:
      - 2
      - 0
    .max_flat_workgroup_size: 256
    .name:           _Z6kernelI23blocked_to_warp_stripediLj256ELj8ELj100EEvPKT0_PKjPS1_
    .private_segment_fixed_size: 0
    .sgpr_count:     18
    .sgpr_spill_count: 0
    .symbol:         _Z6kernelI23blocked_to_warp_stripediLj256ELj8ELj100EEvPKT0_PKjPS1_.kd
    .uniform_work_group_size: 1
    .uses_dynamic_stack: false
    .vgpr_count:     20
    .vgpr_spill_count: 0
    .wavefront_size: 32
    .workgroup_processor_mode: 1
  - .args:
      - .address_space:  global
        .offset:         0
        .size:           8
        .value_kind:     global_buffer
      - .address_space:  global
        .offset:         8
        .size:           8
        .value_kind:     global_buffer
      - .address_space:  global
        .offset:         16
        .size:           8
        .value_kind:     global_buffer
    .group_segment_fixed_size: 256
    .kernarg_segment_align: 8
    .kernarg_segment_size: 24
    .language:       OpenCL C
    .language_version:
      - 2
      - 0
    .max_flat_workgroup_size: 256
    .name:           _Z6kernelI23blocked_to_warp_stripedaLj256ELj1ELj100EEvPKT0_PKjPS1_
    .private_segment_fixed_size: 0
    .sgpr_count:     18
    .sgpr_spill_count: 0
    .symbol:         _Z6kernelI23blocked_to_warp_stripedaLj256ELj1ELj100EEvPKT0_PKjPS1_.kd
    .uniform_work_group_size: 1
    .uses_dynamic_stack: false
    .vgpr_count:     4
    .vgpr_spill_count: 0
    .wavefront_size: 32
    .workgroup_processor_mode: 1
  - .args:
      - .address_space:  global
        .offset:         0
        .size:           8
        .value_kind:     global_buffer
      - .address_space:  global
        .offset:         8
        .size:           8
        .value_kind:     global_buffer
      - .address_space:  global
        .offset:         16
        .size:           8
        .value_kind:     global_buffer
    .group_segment_fixed_size: 528
    .kernarg_segment_align: 8
    .kernarg_segment_size: 24
    .language:       OpenCL C
    .language_version:
      - 2
      - 0
    .max_flat_workgroup_size: 256
    .name:           _Z6kernelI23blocked_to_warp_stripedaLj256ELj2ELj100EEvPKT0_PKjPS1_
    .private_segment_fixed_size: 0
    .sgpr_count:     18
    .sgpr_spill_count: 0
    .symbol:         _Z6kernelI23blocked_to_warp_stripedaLj256ELj2ELj100EEvPKT0_PKjPS1_.kd
    .uniform_work_group_size: 1
    .uses_dynamic_stack: false
    .vgpr_count:     7
    .vgpr_spill_count: 0
    .wavefront_size: 32
    .workgroup_processor_mode: 1
  - .args:
      - .address_space:  global
        .offset:         0
        .size:           8
        .value_kind:     global_buffer
      - .address_space:  global
        .offset:         8
        .size:           8
        .value_kind:     global_buffer
      - .address_space:  global
        .offset:         16
        .size:           8
        .value_kind:     global_buffer
    .group_segment_fixed_size: 768
    .kernarg_segment_align: 8
    .kernarg_segment_size: 24
    .language:       OpenCL C
    .language_version:
      - 2
      - 0
    .max_flat_workgroup_size: 256
    .name:           _Z6kernelI23blocked_to_warp_stripedaLj256ELj3ELj100EEvPKT0_PKjPS1_
    .private_segment_fixed_size: 0
    .sgpr_count:     18
    .sgpr_spill_count: 0
    .symbol:         _Z6kernelI23blocked_to_warp_stripedaLj256ELj3ELj100EEvPKT0_PKjPS1_.kd
    .uniform_work_group_size: 1
    .uses_dynamic_stack: false
    .vgpr_count:     9
    .vgpr_spill_count: 0
    .wavefront_size: 32
    .workgroup_processor_mode: 1
  - .args:
      - .address_space:  global
        .offset:         0
        .size:           8
        .value_kind:     global_buffer
      - .address_space:  global
        .offset:         8
        .size:           8
        .value_kind:     global_buffer
      - .address_space:  global
        .offset:         16
        .size:           8
        .value_kind:     global_buffer
    .group_segment_fixed_size: 1056
    .kernarg_segment_align: 8
    .kernarg_segment_size: 24
    .language:       OpenCL C
    .language_version:
      - 2
      - 0
    .max_flat_workgroup_size: 256
    .name:           _Z6kernelI23blocked_to_warp_stripedaLj256ELj4ELj100EEvPKT0_PKjPS1_
    .private_segment_fixed_size: 0
    .sgpr_count:     18
    .sgpr_spill_count: 0
    .symbol:         _Z6kernelI23blocked_to_warp_stripedaLj256ELj4ELj100EEvPKT0_PKjPS1_.kd
    .uniform_work_group_size: 1
    .uses_dynamic_stack: false
    .vgpr_count:     10
    .vgpr_spill_count: 0
    .wavefront_size: 32
    .workgroup_processor_mode: 1
  - .args:
      - .address_space:  global
        .offset:         0
        .size:           8
        .value_kind:     global_buffer
      - .address_space:  global
        .offset:         8
        .size:           8
        .value_kind:     global_buffer
      - .address_space:  global
        .offset:         16
        .size:           8
        .value_kind:     global_buffer
    .group_segment_fixed_size: 1792
    .kernarg_segment_align: 8
    .kernarg_segment_size: 24
    .language:       OpenCL C
    .language_version:
      - 2
      - 0
    .max_flat_workgroup_size: 256
    .name:           _Z6kernelI23blocked_to_warp_stripedaLj256ELj7ELj100EEvPKT0_PKjPS1_
    .private_segment_fixed_size: 0
    .sgpr_count:     18
    .sgpr_spill_count: 0
    .symbol:         _Z6kernelI23blocked_to_warp_stripedaLj256ELj7ELj100EEvPKT0_PKjPS1_.kd
    .uniform_work_group_size: 1
    .uses_dynamic_stack: false
    .vgpr_count:     13
    .vgpr_spill_count: 0
    .wavefront_size: 32
    .workgroup_processor_mode: 1
  - .args:
      - .address_space:  global
        .offset:         0
        .size:           8
        .value_kind:     global_buffer
      - .address_space:  global
        .offset:         8
        .size:           8
        .value_kind:     global_buffer
      - .address_space:  global
        .offset:         16
        .size:           8
        .value_kind:     global_buffer
    .group_segment_fixed_size: 2112
    .kernarg_segment_align: 8
    .kernarg_segment_size: 24
    .language:       OpenCL C
    .language_version:
      - 2
      - 0
    .max_flat_workgroup_size: 256
    .name:           _Z6kernelI23blocked_to_warp_stripedaLj256ELj8ELj100EEvPKT0_PKjPS1_
    .private_segment_fixed_size: 0
    .sgpr_count:     18
    .sgpr_spill_count: 0
    .symbol:         _Z6kernelI23blocked_to_warp_stripedaLj256ELj8ELj100EEvPKT0_PKjPS1_.kd
    .uniform_work_group_size: 1
    .uses_dynamic_stack: false
    .vgpr_count:     17
    .vgpr_spill_count: 0
    .wavefront_size: 32
    .workgroup_processor_mode: 1
  - .args:
      - .address_space:  global
        .offset:         0
        .size:           8
        .value_kind:     global_buffer
      - .address_space:  global
        .offset:         8
        .size:           8
        .value_kind:     global_buffer
      - .address_space:  global
        .offset:         16
        .size:           8
        .value_kind:     global_buffer
    .group_segment_fixed_size: 2048
    .kernarg_segment_align: 8
    .kernarg_segment_size: 24
    .language:       OpenCL C
    .language_version:
      - 2
      - 0
    .max_flat_workgroup_size: 256
    .name:           _Z6kernelI23blocked_to_warp_stripedxLj256ELj1ELj100EEvPKT0_PKjPS1_
    .private_segment_fixed_size: 0
    .sgpr_count:     18
    .sgpr_spill_count: 0
    .symbol:         _Z6kernelI23blocked_to_warp_stripedxLj256ELj1ELj100EEvPKT0_PKjPS1_.kd
    .uniform_work_group_size: 1
    .uses_dynamic_stack: false
    .vgpr_count:     5
    .vgpr_spill_count: 0
    .wavefront_size: 32
    .workgroup_processor_mode: 1
  - .args:
      - .address_space:  global
        .offset:         0
        .size:           8
        .value_kind:     global_buffer
      - .address_space:  global
        .offset:         8
        .size:           8
        .value_kind:     global_buffer
      - .address_space:  global
        .offset:         16
        .size:           8
        .value_kind:     global_buffer
    .group_segment_fixed_size: 4224
    .kernarg_segment_align: 8
    .kernarg_segment_size: 24
    .language:       OpenCL C
    .language_version:
      - 2
      - 0
    .max_flat_workgroup_size: 256
    .name:           _Z6kernelI23blocked_to_warp_stripedxLj256ELj2ELj100EEvPKT0_PKjPS1_
    .private_segment_fixed_size: 0
    .sgpr_count:     18
    .sgpr_spill_count: 0
    .symbol:         _Z6kernelI23blocked_to_warp_stripedxLj256ELj2ELj100EEvPKT0_PKjPS1_.kd
    .uniform_work_group_size: 1
    .uses_dynamic_stack: false
    .vgpr_count:     11
    .vgpr_spill_count: 0
    .wavefront_size: 32
    .workgroup_processor_mode: 1
  - .args:
      - .address_space:  global
        .offset:         0
        .size:           8
        .value_kind:     global_buffer
      - .address_space:  global
        .offset:         8
        .size:           8
        .value_kind:     global_buffer
      - .address_space:  global
        .offset:         16
        .size:           8
        .value_kind:     global_buffer
    .group_segment_fixed_size: 6144
    .kernarg_segment_align: 8
    .kernarg_segment_size: 24
    .language:       OpenCL C
    .language_version:
      - 2
      - 0
    .max_flat_workgroup_size: 256
    .name:           _Z6kernelI23blocked_to_warp_stripedxLj256ELj3ELj100EEvPKT0_PKjPS1_
    .private_segment_fixed_size: 0
    .sgpr_count:     18
    .sgpr_spill_count: 0
    .symbol:         _Z6kernelI23blocked_to_warp_stripedxLj256ELj3ELj100EEvPKT0_PKjPS1_.kd
    .uniform_work_group_size: 1
    .uses_dynamic_stack: false
    .vgpr_count:     11
    .vgpr_spill_count: 0
    .wavefront_size: 32
    .workgroup_processor_mode: 1
  - .args:
      - .address_space:  global
        .offset:         0
        .size:           8
        .value_kind:     global_buffer
      - .address_space:  global
        .offset:         8
        .size:           8
        .value_kind:     global_buffer
      - .address_space:  global
        .offset:         16
        .size:           8
        .value_kind:     global_buffer
    .group_segment_fixed_size: 8448
    .kernarg_segment_align: 8
    .kernarg_segment_size: 24
    .language:       OpenCL C
    .language_version:
      - 2
      - 0
    .max_flat_workgroup_size: 256
    .name:           _Z6kernelI23blocked_to_warp_stripedxLj256ELj4ELj100EEvPKT0_PKjPS1_
    .private_segment_fixed_size: 0
    .sgpr_count:     18
    .sgpr_spill_count: 0
    .symbol:         _Z6kernelI23blocked_to_warp_stripedxLj256ELj4ELj100EEvPKT0_PKjPS1_.kd
    .uniform_work_group_size: 1
    .uses_dynamic_stack: false
    .vgpr_count:     17
    .vgpr_spill_count: 0
    .wavefront_size: 32
    .workgroup_processor_mode: 1
  - .args:
      - .address_space:  global
        .offset:         0
        .size:           8
        .value_kind:     global_buffer
      - .address_space:  global
        .offset:         8
        .size:           8
        .value_kind:     global_buffer
      - .address_space:  global
        .offset:         16
        .size:           8
        .value_kind:     global_buffer
    .group_segment_fixed_size: 14336
    .kernarg_segment_align: 8
    .kernarg_segment_size: 24
    .language:       OpenCL C
    .language_version:
      - 2
      - 0
    .max_flat_workgroup_size: 256
    .name:           _Z6kernelI23blocked_to_warp_stripedxLj256ELj7ELj100EEvPKT0_PKjPS1_
    .private_segment_fixed_size: 0
    .sgpr_count:     18
    .sgpr_spill_count: 0
    .symbol:         _Z6kernelI23blocked_to_warp_stripedxLj256ELj7ELj100EEvPKT0_PKjPS1_.kd
    .uniform_work_group_size: 1
    .uses_dynamic_stack: false
    .vgpr_count:     19
    .vgpr_spill_count: 0
    .wavefront_size: 32
    .workgroup_processor_mode: 1
  - .args:
      - .address_space:  global
        .offset:         0
        .size:           8
        .value_kind:     global_buffer
      - .address_space:  global
        .offset:         8
        .size:           8
        .value_kind:     global_buffer
      - .address_space:  global
        .offset:         16
        .size:           8
        .value_kind:     global_buffer
    .group_segment_fixed_size: 16896
    .kernarg_segment_align: 8
    .kernarg_segment_size: 24
    .language:       OpenCL C
    .language_version:
      - 2
      - 0
    .max_flat_workgroup_size: 256
    .name:           _Z6kernelI23blocked_to_warp_stripedxLj256ELj8ELj100EEvPKT0_PKjPS1_
    .private_segment_fixed_size: 0
    .sgpr_count:     18
    .sgpr_spill_count: 0
    .symbol:         _Z6kernelI23blocked_to_warp_stripedxLj256ELj8ELj100EEvPKT0_PKjPS1_.kd
    .uniform_work_group_size: 1
    .uses_dynamic_stack: false
    .vgpr_count:     28
    .vgpr_spill_count: 0
    .wavefront_size: 32
    .workgroup_processor_mode: 1
  - .args:
      - .address_space:  global
        .offset:         0
        .size:           8
        .value_kind:     global_buffer
      - .address_space:  global
        .offset:         8
        .size:           8
        .value_kind:     global_buffer
      - .address_space:  global
        .offset:         16
        .size:           8
        .value_kind:     global_buffer
    .group_segment_fixed_size: 2048
    .kernarg_segment_align: 8
    .kernarg_segment_size: 24
    .language:       OpenCL C
    .language_version:
      - 2
      - 0
    .max_flat_workgroup_size: 256
    .name:           _Z6kernelI23blocked_to_warp_stripedN15benchmark_utils11custom_typeIffEELj256ELj1ELj100EEvPKT0_PKjPS4_
    .private_segment_fixed_size: 0
    .sgpr_count:     18
    .sgpr_spill_count: 0
    .symbol:         _Z6kernelI23blocked_to_warp_stripedN15benchmark_utils11custom_typeIffEELj256ELj1ELj100EEvPKT0_PKjPS4_.kd
    .uniform_work_group_size: 1
    .uses_dynamic_stack: false
    .vgpr_count:     5
    .vgpr_spill_count: 0
    .wavefront_size: 32
    .workgroup_processor_mode: 1
  - .args:
      - .address_space:  global
        .offset:         0
        .size:           8
        .value_kind:     global_buffer
      - .address_space:  global
        .offset:         8
        .size:           8
        .value_kind:     global_buffer
      - .address_space:  global
        .offset:         16
        .size:           8
        .value_kind:     global_buffer
    .group_segment_fixed_size: 4224
    .kernarg_segment_align: 8
    .kernarg_segment_size: 24
    .language:       OpenCL C
    .language_version:
      - 2
      - 0
    .max_flat_workgroup_size: 256
    .name:           _Z6kernelI23blocked_to_warp_stripedN15benchmark_utils11custom_typeIffEELj256ELj2ELj100EEvPKT0_PKjPS4_
    .private_segment_fixed_size: 0
    .sgpr_count:     18
    .sgpr_spill_count: 0
    .symbol:         _Z6kernelI23blocked_to_warp_stripedN15benchmark_utils11custom_typeIffEELj256ELj2ELj100EEvPKT0_PKjPS4_.kd
    .uniform_work_group_size: 1
    .uses_dynamic_stack: false
    .vgpr_count:     11
    .vgpr_spill_count: 0
    .wavefront_size: 32
    .workgroup_processor_mode: 1
  - .args:
      - .address_space:  global
        .offset:         0
        .size:           8
        .value_kind:     global_buffer
      - .address_space:  global
        .offset:         8
        .size:           8
        .value_kind:     global_buffer
      - .address_space:  global
        .offset:         16
        .size:           8
        .value_kind:     global_buffer
    .group_segment_fixed_size: 6144
    .kernarg_segment_align: 8
    .kernarg_segment_size: 24
    .language:       OpenCL C
    .language_version:
      - 2
      - 0
    .max_flat_workgroup_size: 256
    .name:           _Z6kernelI23blocked_to_warp_stripedN15benchmark_utils11custom_typeIffEELj256ELj3ELj100EEvPKT0_PKjPS4_
    .private_segment_fixed_size: 0
    .sgpr_count:     18
    .sgpr_spill_count: 0
    .symbol:         _Z6kernelI23blocked_to_warp_stripedN15benchmark_utils11custom_typeIffEELj256ELj3ELj100EEvPKT0_PKjPS4_.kd
    .uniform_work_group_size: 1
    .uses_dynamic_stack: false
    .vgpr_count:     11
    .vgpr_spill_count: 0
    .wavefront_size: 32
    .workgroup_processor_mode: 1
  - .args:
      - .address_space:  global
        .offset:         0
        .size:           8
        .value_kind:     global_buffer
      - .address_space:  global
        .offset:         8
        .size:           8
        .value_kind:     global_buffer
      - .address_space:  global
        .offset:         16
        .size:           8
        .value_kind:     global_buffer
    .group_segment_fixed_size: 8448
    .kernarg_segment_align: 8
    .kernarg_segment_size: 24
    .language:       OpenCL C
    .language_version:
      - 2
      - 0
    .max_flat_workgroup_size: 256
    .name:           _Z6kernelI23blocked_to_warp_stripedN15benchmark_utils11custom_typeIffEELj256ELj4ELj100EEvPKT0_PKjPS4_
    .private_segment_fixed_size: 0
    .sgpr_count:     18
    .sgpr_spill_count: 0
    .symbol:         _Z6kernelI23blocked_to_warp_stripedN15benchmark_utils11custom_typeIffEELj256ELj4ELj100EEvPKT0_PKjPS4_.kd
    .uniform_work_group_size: 1
    .uses_dynamic_stack: false
    .vgpr_count:     17
    .vgpr_spill_count: 0
    .wavefront_size: 32
    .workgroup_processor_mode: 1
  - .args:
      - .address_space:  global
        .offset:         0
        .size:           8
        .value_kind:     global_buffer
      - .address_space:  global
        .offset:         8
        .size:           8
        .value_kind:     global_buffer
      - .address_space:  global
        .offset:         16
        .size:           8
        .value_kind:     global_buffer
    .group_segment_fixed_size: 14336
    .kernarg_segment_align: 8
    .kernarg_segment_size: 24
    .language:       OpenCL C
    .language_version:
      - 2
      - 0
    .max_flat_workgroup_size: 256
    .name:           _Z6kernelI23blocked_to_warp_stripedN15benchmark_utils11custom_typeIffEELj256ELj7ELj100EEvPKT0_PKjPS4_
    .private_segment_fixed_size: 0
    .sgpr_count:     18
    .sgpr_spill_count: 0
    .symbol:         _Z6kernelI23blocked_to_warp_stripedN15benchmark_utils11custom_typeIffEELj256ELj7ELj100EEvPKT0_PKjPS4_.kd
    .uniform_work_group_size: 1
    .uses_dynamic_stack: false
    .vgpr_count:     19
    .vgpr_spill_count: 0
    .wavefront_size: 32
    .workgroup_processor_mode: 1
  - .args:
      - .address_space:  global
        .offset:         0
        .size:           8
        .value_kind:     global_buffer
      - .address_space:  global
        .offset:         8
        .size:           8
        .value_kind:     global_buffer
      - .address_space:  global
        .offset:         16
        .size:           8
        .value_kind:     global_buffer
    .group_segment_fixed_size: 16896
    .kernarg_segment_align: 8
    .kernarg_segment_size: 24
    .language:       OpenCL C
    .language_version:
      - 2
      - 0
    .max_flat_workgroup_size: 256
    .name:           _Z6kernelI23blocked_to_warp_stripedN15benchmark_utils11custom_typeIffEELj256ELj8ELj100EEvPKT0_PKjPS4_
    .private_segment_fixed_size: 0
    .sgpr_count:     18
    .sgpr_spill_count: 0
    .symbol:         _Z6kernelI23blocked_to_warp_stripedN15benchmark_utils11custom_typeIffEELj256ELj8ELj100EEvPKT0_PKjPS4_.kd
    .uniform_work_group_size: 1
    .uses_dynamic_stack: false
    .vgpr_count:     28
    .vgpr_spill_count: 0
    .wavefront_size: 32
    .workgroup_processor_mode: 1
  - .args:
      - .address_space:  global
        .offset:         0
        .size:           8
        .value_kind:     global_buffer
      - .address_space:  global
        .offset:         8
        .size:           8
        .value_kind:     global_buffer
      - .address_space:  global
        .offset:         16
        .size:           8
        .value_kind:     global_buffer
    .group_segment_fixed_size: 4096
    .kernarg_segment_align: 8
    .kernarg_segment_size: 24
    .language:       OpenCL C
    .language_version:
      - 2
      - 0
    .max_flat_workgroup_size: 256
    .name:           _Z6kernelI23blocked_to_warp_stripedN15benchmark_utils11custom_typeIddEELj256ELj1ELj100EEvPKT0_PKjPS4_
    .private_segment_fixed_size: 0
    .sgpr_count:     18
    .sgpr_spill_count: 0
    .symbol:         _Z6kernelI23blocked_to_warp_stripedN15benchmark_utils11custom_typeIddEELj256ELj1ELj100EEvPKT0_PKjPS4_.kd
    .uniform_work_group_size: 1
    .uses_dynamic_stack: false
    .vgpr_count:     7
    .vgpr_spill_count: 0
    .wavefront_size: 32
    .workgroup_processor_mode: 1
  - .args:
      - .address_space:  global
        .offset:         0
        .size:           8
        .value_kind:     global_buffer
      - .address_space:  global
        .offset:         8
        .size:           8
        .value_kind:     global_buffer
      - .address_space:  global
        .offset:         16
        .size:           8
        .value_kind:     global_buffer
    .group_segment_fixed_size: 8448
    .kernarg_segment_align: 8
    .kernarg_segment_size: 24
    .language:       OpenCL C
    .language_version:
      - 2
      - 0
    .max_flat_workgroup_size: 256
    .name:           _Z6kernelI23blocked_to_warp_stripedN15benchmark_utils11custom_typeIddEELj256ELj2ELj100EEvPKT0_PKjPS4_
    .private_segment_fixed_size: 0
    .sgpr_count:     18
    .sgpr_spill_count: 0
    .symbol:         _Z6kernelI23blocked_to_warp_stripedN15benchmark_utils11custom_typeIddEELj256ELj2ELj100EEvPKT0_PKjPS4_.kd
    .uniform_work_group_size: 1
    .uses_dynamic_stack: false
    .vgpr_count:     16
    .vgpr_spill_count: 0
    .wavefront_size: 32
    .workgroup_processor_mode: 1
  - .args:
      - .address_space:  global
        .offset:         0
        .size:           8
        .value_kind:     global_buffer
      - .address_space:  global
        .offset:         8
        .size:           8
        .value_kind:     global_buffer
      - .address_space:  global
        .offset:         16
        .size:           8
        .value_kind:     global_buffer
    .group_segment_fixed_size: 12288
    .kernarg_segment_align: 8
    .kernarg_segment_size: 24
    .language:       OpenCL C
    .language_version:
      - 2
      - 0
    .max_flat_workgroup_size: 256
    .name:           _Z6kernelI23blocked_to_warp_stripedN15benchmark_utils11custom_typeIddEELj256ELj3ELj100EEvPKT0_PKjPS4_
    .private_segment_fixed_size: 0
    .sgpr_count:     18
    .sgpr_spill_count: 0
    .symbol:         _Z6kernelI23blocked_to_warp_stripedN15benchmark_utils11custom_typeIddEELj256ELj3ELj100EEvPKT0_PKjPS4_.kd
    .uniform_work_group_size: 1
    .uses_dynamic_stack: false
    .vgpr_count:     17
    .vgpr_spill_count: 0
    .wavefront_size: 32
    .workgroup_processor_mode: 1
  - .args:
      - .address_space:  global
        .offset:         0
        .size:           8
        .value_kind:     global_buffer
      - .address_space:  global
        .offset:         8
        .size:           8
        .value_kind:     global_buffer
      - .address_space:  global
        .offset:         16
        .size:           8
        .value_kind:     global_buffer
    .group_segment_fixed_size: 16896
    .kernarg_segment_align: 8
    .kernarg_segment_size: 24
    .language:       OpenCL C
    .language_version:
      - 2
      - 0
    .max_flat_workgroup_size: 256
    .name:           _Z6kernelI23blocked_to_warp_stripedN15benchmark_utils11custom_typeIddEELj256ELj4ELj100EEvPKT0_PKjPS4_
    .private_segment_fixed_size: 0
    .sgpr_count:     18
    .sgpr_spill_count: 0
    .symbol:         _Z6kernelI23blocked_to_warp_stripedN15benchmark_utils11custom_typeIddEELj256ELj4ELj100EEvPKT0_PKjPS4_.kd
    .uniform_work_group_size: 1
    .uses_dynamic_stack: false
    .vgpr_count:     25
    .vgpr_spill_count: 0
    .wavefront_size: 32
    .workgroup_processor_mode: 1
  - .args:
      - .address_space:  global
        .offset:         0
        .size:           8
        .value_kind:     global_buffer
      - .address_space:  global
        .offset:         8
        .size:           8
        .value_kind:     global_buffer
      - .address_space:  global
        .offset:         16
        .size:           8
        .value_kind:     global_buffer
    .group_segment_fixed_size: 28672
    .kernarg_segment_align: 8
    .kernarg_segment_size: 24
    .language:       OpenCL C
    .language_version:
      - 2
      - 0
    .max_flat_workgroup_size: 256
    .name:           _Z6kernelI23blocked_to_warp_stripedN15benchmark_utils11custom_typeIddEELj256ELj7ELj100EEvPKT0_PKjPS4_
    .private_segment_fixed_size: 0
    .sgpr_count:     18
    .sgpr_spill_count: 0
    .symbol:         _Z6kernelI23blocked_to_warp_stripedN15benchmark_utils11custom_typeIddEELj256ELj7ELj100EEvPKT0_PKjPS4_.kd
    .uniform_work_group_size: 1
    .uses_dynamic_stack: false
    .vgpr_count:     33
    .vgpr_spill_count: 0
    .wavefront_size: 32
    .workgroup_processor_mode: 1
  - .args:
      - .address_space:  global
        .offset:         0
        .size:           8
        .value_kind:     global_buffer
      - .address_space:  global
        .offset:         8
        .size:           8
        .value_kind:     global_buffer
      - .address_space:  global
        .offset:         16
        .size:           8
        .value_kind:     global_buffer
    .group_segment_fixed_size: 33792
    .kernarg_segment_align: 8
    .kernarg_segment_size: 24
    .language:       OpenCL C
    .language_version:
      - 2
      - 0
    .max_flat_workgroup_size: 256
    .name:           _Z6kernelI23blocked_to_warp_stripedN15benchmark_utils11custom_typeIddEELj256ELj8ELj100EEvPKT0_PKjPS4_
    .private_segment_fixed_size: 0
    .sgpr_count:     18
    .sgpr_spill_count: 0
    .symbol:         _Z6kernelI23blocked_to_warp_stripedN15benchmark_utils11custom_typeIddEELj256ELj8ELj100EEvPKT0_PKjPS4_.kd
    .uniform_work_group_size: 1
    .uses_dynamic_stack: false
    .vgpr_count:     44
    .vgpr_spill_count: 0
    .wavefront_size: 32
    .workgroup_processor_mode: 1
  - .args:
      - .address_space:  global
        .offset:         0
        .size:           8
        .value_kind:     global_buffer
      - .address_space:  global
        .offset:         8
        .size:           8
        .value_kind:     global_buffer
      - .address_space:  global
        .offset:         16
        .size:           8
        .value_kind:     global_buffer
    .group_segment_fixed_size: 1024
    .kernarg_segment_align: 8
    .kernarg_segment_size: 24
    .language:       OpenCL C
    .language_version:
      - 2
      - 0
    .max_flat_workgroup_size: 256
    .name:           _Z6kernelI23warp_striped_to_blockediLj256ELj1ELj100EEvPKT0_PKjPS1_
    .private_segment_fixed_size: 0
    .sgpr_count:     18
    .sgpr_spill_count: 0
    .symbol:         _Z6kernelI23warp_striped_to_blockediLj256ELj1ELj100EEvPKT0_PKjPS1_.kd
    .uniform_work_group_size: 1
    .uses_dynamic_stack: false
    .vgpr_count:     5
    .vgpr_spill_count: 0
    .wavefront_size: 32
    .workgroup_processor_mode: 1
  - .args:
      - .address_space:  global
        .offset:         0
        .size:           8
        .value_kind:     global_buffer
      - .address_space:  global
        .offset:         8
        .size:           8
        .value_kind:     global_buffer
      - .address_space:  global
        .offset:         16
        .size:           8
        .value_kind:     global_buffer
    .group_segment_fixed_size: 2112
    .kernarg_segment_align: 8
    .kernarg_segment_size: 24
    .language:       OpenCL C
    .language_version:
      - 2
      - 0
    .max_flat_workgroup_size: 256
    .name:           _Z6kernelI23warp_striped_to_blockediLj256ELj2ELj100EEvPKT0_PKjPS1_
    .private_segment_fixed_size: 0
    .sgpr_count:     18
    .sgpr_spill_count: 0
    .symbol:         _Z6kernelI23warp_striped_to_blockediLj256ELj2ELj100EEvPKT0_PKjPS1_.kd
    .uniform_work_group_size: 1
    .uses_dynamic_stack: false
    .vgpr_count:     9
    .vgpr_spill_count: 0
    .wavefront_size: 32
    .workgroup_processor_mode: 1
  - .args:
      - .address_space:  global
        .offset:         0
        .size:           8
        .value_kind:     global_buffer
      - .address_space:  global
        .offset:         8
        .size:           8
        .value_kind:     global_buffer
      - .address_space:  global
        .offset:         16
        .size:           8
        .value_kind:     global_buffer
    .group_segment_fixed_size: 3072
    .kernarg_segment_align: 8
    .kernarg_segment_size: 24
    .language:       OpenCL C
    .language_version:
      - 2
      - 0
    .max_flat_workgroup_size: 256
    .name:           _Z6kernelI23warp_striped_to_blockediLj256ELj3ELj100EEvPKT0_PKjPS1_
    .private_segment_fixed_size: 0
    .sgpr_count:     18
    .sgpr_spill_count: 0
    .symbol:         _Z6kernelI23warp_striped_to_blockediLj256ELj3ELj100EEvPKT0_PKjPS1_.kd
    .uniform_work_group_size: 1
    .uses_dynamic_stack: false
    .vgpr_count:     8
    .vgpr_spill_count: 0
    .wavefront_size: 32
    .workgroup_processor_mode: 1
  - .args:
      - .address_space:  global
        .offset:         0
        .size:           8
        .value_kind:     global_buffer
      - .address_space:  global
        .offset:         8
        .size:           8
        .value_kind:     global_buffer
      - .address_space:  global
        .offset:         16
        .size:           8
        .value_kind:     global_buffer
    .group_segment_fixed_size: 4224
    .kernarg_segment_align: 8
    .kernarg_segment_size: 24
    .language:       OpenCL C
    .language_version:
      - 2
      - 0
    .max_flat_workgroup_size: 256
    .name:           _Z6kernelI23warp_striped_to_blockediLj256ELj4ELj100EEvPKT0_PKjPS1_
    .private_segment_fixed_size: 0
    .sgpr_count:     18
    .sgpr_spill_count: 0
    .symbol:         _Z6kernelI23warp_striped_to_blockediLj256ELj4ELj100EEvPKT0_PKjPS1_.kd
    .uniform_work_group_size: 1
    .uses_dynamic_stack: false
    .vgpr_count:     13
    .vgpr_spill_count: 0
    .wavefront_size: 32
    .workgroup_processor_mode: 1
  - .args:
      - .address_space:  global
        .offset:         0
        .size:           8
        .value_kind:     global_buffer
      - .address_space:  global
        .offset:         8
        .size:           8
        .value_kind:     global_buffer
      - .address_space:  global
        .offset:         16
        .size:           8
        .value_kind:     global_buffer
    .group_segment_fixed_size: 7168
    .kernarg_segment_align: 8
    .kernarg_segment_size: 24
    .language:       OpenCL C
    .language_version:
      - 2
      - 0
    .max_flat_workgroup_size: 256
    .name:           _Z6kernelI23warp_striped_to_blockediLj256ELj7ELj100EEvPKT0_PKjPS1_
    .private_segment_fixed_size: 0
    .sgpr_count:     18
    .sgpr_spill_count: 0
    .symbol:         _Z6kernelI23warp_striped_to_blockediLj256ELj7ELj100EEvPKT0_PKjPS1_.kd
    .uniform_work_group_size: 1
    .uses_dynamic_stack: false
    .vgpr_count:     12
    .vgpr_spill_count: 0
    .wavefront_size: 32
    .workgroup_processor_mode: 1
  - .args:
      - .address_space:  global
        .offset:         0
        .size:           8
        .value_kind:     global_buffer
      - .address_space:  global
        .offset:         8
        .size:           8
        .value_kind:     global_buffer
      - .address_space:  global
        .offset:         16
        .size:           8
        .value_kind:     global_buffer
    .group_segment_fixed_size: 8448
    .kernarg_segment_align: 8
    .kernarg_segment_size: 24
    .language:       OpenCL C
    .language_version:
      - 2
      - 0
    .max_flat_workgroup_size: 256
    .name:           _Z6kernelI23warp_striped_to_blockediLj256ELj8ELj100EEvPKT0_PKjPS1_
    .private_segment_fixed_size: 0
    .sgpr_count:     18
    .sgpr_spill_count: 0
    .symbol:         _Z6kernelI23warp_striped_to_blockediLj256ELj8ELj100EEvPKT0_PKjPS1_.kd
    .uniform_work_group_size: 1
    .uses_dynamic_stack: false
    .vgpr_count:     22
    .vgpr_spill_count: 0
    .wavefront_size: 32
    .workgroup_processor_mode: 1
  - .args:
      - .address_space:  global
        .offset:         0
        .size:           8
        .value_kind:     global_buffer
      - .address_space:  global
        .offset:         8
        .size:           8
        .value_kind:     global_buffer
      - .address_space:  global
        .offset:         16
        .size:           8
        .value_kind:     global_buffer
    .group_segment_fixed_size: 256
    .kernarg_segment_align: 8
    .kernarg_segment_size: 24
    .language:       OpenCL C
    .language_version:
      - 2
      - 0
    .max_flat_workgroup_size: 256
    .name:           _Z6kernelI23warp_striped_to_blockedaLj256ELj1ELj100EEvPKT0_PKjPS1_
    .private_segment_fixed_size: 0
    .sgpr_count:     18
    .sgpr_spill_count: 0
    .symbol:         _Z6kernelI23warp_striped_to_blockedaLj256ELj1ELj100EEvPKT0_PKjPS1_.kd
    .uniform_work_group_size: 1
    .uses_dynamic_stack: false
    .vgpr_count:     5
    .vgpr_spill_count: 0
    .wavefront_size: 32
    .workgroup_processor_mode: 1
  - .args:
      - .address_space:  global
        .offset:         0
        .size:           8
        .value_kind:     global_buffer
      - .address_space:  global
        .offset:         8
        .size:           8
        .value_kind:     global_buffer
      - .address_space:  global
        .offset:         16
        .size:           8
        .value_kind:     global_buffer
    .group_segment_fixed_size: 528
    .kernarg_segment_align: 8
    .kernarg_segment_size: 24
    .language:       OpenCL C
    .language_version:
      - 2
      - 0
    .max_flat_workgroup_size: 256
    .name:           _Z6kernelI23warp_striped_to_blockedaLj256ELj2ELj100EEvPKT0_PKjPS1_
    .private_segment_fixed_size: 0
    .sgpr_count:     18
    .sgpr_spill_count: 0
    .symbol:         _Z6kernelI23warp_striped_to_blockedaLj256ELj2ELj100EEvPKT0_PKjPS1_.kd
    .uniform_work_group_size: 1
    .uses_dynamic_stack: false
    .vgpr_count:     7
    .vgpr_spill_count: 0
    .wavefront_size: 32
    .workgroup_processor_mode: 1
  - .args:
      - .address_space:  global
        .offset:         0
        .size:           8
        .value_kind:     global_buffer
      - .address_space:  global
        .offset:         8
        .size:           8
        .value_kind:     global_buffer
      - .address_space:  global
        .offset:         16
        .size:           8
        .value_kind:     global_buffer
    .group_segment_fixed_size: 768
    .kernarg_segment_align: 8
    .kernarg_segment_size: 24
    .language:       OpenCL C
    .language_version:
      - 2
      - 0
    .max_flat_workgroup_size: 256
    .name:           _Z6kernelI23warp_striped_to_blockedaLj256ELj3ELj100EEvPKT0_PKjPS1_
    .private_segment_fixed_size: 0
    .sgpr_count:     18
    .sgpr_spill_count: 0
    .symbol:         _Z6kernelI23warp_striped_to_blockedaLj256ELj3ELj100EEvPKT0_PKjPS1_.kd
    .uniform_work_group_size: 1
    .uses_dynamic_stack: false
    .vgpr_count:     7
    .vgpr_spill_count: 0
    .wavefront_size: 32
    .workgroup_processor_mode: 1
  - .args:
      - .address_space:  global
        .offset:         0
        .size:           8
        .value_kind:     global_buffer
      - .address_space:  global
        .offset:         8
        .size:           8
        .value_kind:     global_buffer
      - .address_space:  global
        .offset:         16
        .size:           8
        .value_kind:     global_buffer
    .group_segment_fixed_size: 1056
    .kernarg_segment_align: 8
    .kernarg_segment_size: 24
    .language:       OpenCL C
    .language_version:
      - 2
      - 0
    .max_flat_workgroup_size: 256
    .name:           _Z6kernelI23warp_striped_to_blockedaLj256ELj4ELj100EEvPKT0_PKjPS1_
    .private_segment_fixed_size: 0
    .sgpr_count:     18
    .sgpr_spill_count: 0
    .symbol:         _Z6kernelI23warp_striped_to_blockedaLj256ELj4ELj100EEvPKT0_PKjPS1_.kd
    .uniform_work_group_size: 1
    .uses_dynamic_stack: false
    .vgpr_count:     9
    .vgpr_spill_count: 0
    .wavefront_size: 32
    .workgroup_processor_mode: 1
  - .args:
      - .address_space:  global
        .offset:         0
        .size:           8
        .value_kind:     global_buffer
      - .address_space:  global
        .offset:         8
        .size:           8
        .value_kind:     global_buffer
      - .address_space:  global
        .offset:         16
        .size:           8
        .value_kind:     global_buffer
    .group_segment_fixed_size: 1792
    .kernarg_segment_align: 8
    .kernarg_segment_size: 24
    .language:       OpenCL C
    .language_version:
      - 2
      - 0
    .max_flat_workgroup_size: 256
    .name:           _Z6kernelI23warp_striped_to_blockedaLj256ELj7ELj100EEvPKT0_PKjPS1_
    .private_segment_fixed_size: 0
    .sgpr_count:     18
    .sgpr_spill_count: 0
    .symbol:         _Z6kernelI23warp_striped_to_blockedaLj256ELj7ELj100EEvPKT0_PKjPS1_.kd
    .uniform_work_group_size: 1
    .uses_dynamic_stack: false
    .vgpr_count:     11
    .vgpr_spill_count: 0
    .wavefront_size: 32
    .workgroup_processor_mode: 1
  - .args:
      - .address_space:  global
        .offset:         0
        .size:           8
        .value_kind:     global_buffer
      - .address_space:  global
        .offset:         8
        .size:           8
        .value_kind:     global_buffer
      - .address_space:  global
        .offset:         16
        .size:           8
        .value_kind:     global_buffer
    .group_segment_fixed_size: 2112
    .kernarg_segment_align: 8
    .kernarg_segment_size: 24
    .language:       OpenCL C
    .language_version:
      - 2
      - 0
    .max_flat_workgroup_size: 256
    .name:           _Z6kernelI23warp_striped_to_blockedaLj256ELj8ELj100EEvPKT0_PKjPS1_
    .private_segment_fixed_size: 0
    .sgpr_count:     18
    .sgpr_spill_count: 0
    .symbol:         _Z6kernelI23warp_striped_to_blockedaLj256ELj8ELj100EEvPKT0_PKjPS1_.kd
    .uniform_work_group_size: 1
    .uses_dynamic_stack: false
    .vgpr_count:     14
    .vgpr_spill_count: 0
    .wavefront_size: 32
    .workgroup_processor_mode: 1
  - .args:
      - .address_space:  global
        .offset:         0
        .size:           8
        .value_kind:     global_buffer
      - .address_space:  global
        .offset:         8
        .size:           8
        .value_kind:     global_buffer
      - .address_space:  global
        .offset:         16
        .size:           8
        .value_kind:     global_buffer
    .group_segment_fixed_size: 2048
    .kernarg_segment_align: 8
    .kernarg_segment_size: 24
    .language:       OpenCL C
    .language_version:
      - 2
      - 0
    .max_flat_workgroup_size: 256
    .name:           _Z6kernelI23warp_striped_to_blockedxLj256ELj1ELj100EEvPKT0_PKjPS1_
    .private_segment_fixed_size: 0
    .sgpr_count:     18
    .sgpr_spill_count: 0
    .symbol:         _Z6kernelI23warp_striped_to_blockedxLj256ELj1ELj100EEvPKT0_PKjPS1_.kd
    .uniform_work_group_size: 1
    .uses_dynamic_stack: false
    .vgpr_count:     5
    .vgpr_spill_count: 0
    .wavefront_size: 32
    .workgroup_processor_mode: 1
  - .args:
      - .address_space:  global
        .offset:         0
        .size:           8
        .value_kind:     global_buffer
      - .address_space:  global
        .offset:         8
        .size:           8
        .value_kind:     global_buffer
      - .address_space:  global
        .offset:         16
        .size:           8
        .value_kind:     global_buffer
    .group_segment_fixed_size: 4224
    .kernarg_segment_align: 8
    .kernarg_segment_size: 24
    .language:       OpenCL C
    .language_version:
      - 2
      - 0
    .max_flat_workgroup_size: 256
    .name:           _Z6kernelI23warp_striped_to_blockedxLj256ELj2ELj100EEvPKT0_PKjPS1_
    .private_segment_fixed_size: 0
    .sgpr_count:     18
    .sgpr_spill_count: 0
    .symbol:         _Z6kernelI23warp_striped_to_blockedxLj256ELj2ELj100EEvPKT0_PKjPS1_.kd
    .uniform_work_group_size: 1
    .uses_dynamic_stack: false
    .vgpr_count:     11
    .vgpr_spill_count: 0
    .wavefront_size: 32
    .workgroup_processor_mode: 1
  - .args:
      - .address_space:  global
        .offset:         0
        .size:           8
        .value_kind:     global_buffer
      - .address_space:  global
        .offset:         8
        .size:           8
        .value_kind:     global_buffer
      - .address_space:  global
        .offset:         16
        .size:           8
        .value_kind:     global_buffer
    .group_segment_fixed_size: 6144
    .kernarg_segment_align: 8
    .kernarg_segment_size: 24
    .language:       OpenCL C
    .language_version:
      - 2
      - 0
    .max_flat_workgroup_size: 256
    .name:           _Z6kernelI23warp_striped_to_blockedxLj256ELj3ELj100EEvPKT0_PKjPS1_
    .private_segment_fixed_size: 0
    .sgpr_count:     18
    .sgpr_spill_count: 0
    .symbol:         _Z6kernelI23warp_striped_to_blockedxLj256ELj3ELj100EEvPKT0_PKjPS1_.kd
    .uniform_work_group_size: 1
    .uses_dynamic_stack: false
    .vgpr_count:     11
    .vgpr_spill_count: 0
    .wavefront_size: 32
    .workgroup_processor_mode: 1
  - .args:
      - .address_space:  global
        .offset:         0
        .size:           8
        .value_kind:     global_buffer
      - .address_space:  global
        .offset:         8
        .size:           8
        .value_kind:     global_buffer
      - .address_space:  global
        .offset:         16
        .size:           8
        .value_kind:     global_buffer
    .group_segment_fixed_size: 8448
    .kernarg_segment_align: 8
    .kernarg_segment_size: 24
    .language:       OpenCL C
    .language_version:
      - 2
      - 0
    .max_flat_workgroup_size: 256
    .name:           _Z6kernelI23warp_striped_to_blockedxLj256ELj4ELj100EEvPKT0_PKjPS1_
    .private_segment_fixed_size: 0
    .sgpr_count:     18
    .sgpr_spill_count: 0
    .symbol:         _Z6kernelI23warp_striped_to_blockedxLj256ELj4ELj100EEvPKT0_PKjPS1_.kd
    .uniform_work_group_size: 1
    .uses_dynamic_stack: false
    .vgpr_count:     18
    .vgpr_spill_count: 0
    .wavefront_size: 32
    .workgroup_processor_mode: 1
  - .args:
      - .address_space:  global
        .offset:         0
        .size:           8
        .value_kind:     global_buffer
      - .address_space:  global
        .offset:         8
        .size:           8
        .value_kind:     global_buffer
      - .address_space:  global
        .offset:         16
        .size:           8
        .value_kind:     global_buffer
    .group_segment_fixed_size: 14336
    .kernarg_segment_align: 8
    .kernarg_segment_size: 24
    .language:       OpenCL C
    .language_version:
      - 2
      - 0
    .max_flat_workgroup_size: 256
    .name:           _Z6kernelI23warp_striped_to_blockedxLj256ELj7ELj100EEvPKT0_PKjPS1_
    .private_segment_fixed_size: 0
    .sgpr_count:     18
    .sgpr_spill_count: 0
    .symbol:         _Z6kernelI23warp_striped_to_blockedxLj256ELj7ELj100EEvPKT0_PKjPS1_.kd
    .uniform_work_group_size: 1
    .uses_dynamic_stack: false
    .vgpr_count:     19
    .vgpr_spill_count: 0
    .wavefront_size: 32
    .workgroup_processor_mode: 1
  - .args:
      - .address_space:  global
        .offset:         0
        .size:           8
        .value_kind:     global_buffer
      - .address_space:  global
        .offset:         8
        .size:           8
        .value_kind:     global_buffer
      - .address_space:  global
        .offset:         16
        .size:           8
        .value_kind:     global_buffer
    .group_segment_fixed_size: 16896
    .kernarg_segment_align: 8
    .kernarg_segment_size: 24
    .language:       OpenCL C
    .language_version:
      - 2
      - 0
    .max_flat_workgroup_size: 256
    .name:           _Z6kernelI23warp_striped_to_blockedxLj256ELj8ELj100EEvPKT0_PKjPS1_
    .private_segment_fixed_size: 0
    .sgpr_count:     18
    .sgpr_spill_count: 0
    .symbol:         _Z6kernelI23warp_striped_to_blockedxLj256ELj8ELj100EEvPKT0_PKjPS1_.kd
    .uniform_work_group_size: 1
    .uses_dynamic_stack: false
    .vgpr_count:     30
    .vgpr_spill_count: 0
    .wavefront_size: 32
    .workgroup_processor_mode: 1
  - .args:
      - .address_space:  global
        .offset:         0
        .size:           8
        .value_kind:     global_buffer
      - .address_space:  global
        .offset:         8
        .size:           8
        .value_kind:     global_buffer
      - .address_space:  global
        .offset:         16
        .size:           8
        .value_kind:     global_buffer
    .group_segment_fixed_size: 2048
    .kernarg_segment_align: 8
    .kernarg_segment_size: 24
    .language:       OpenCL C
    .language_version:
      - 2
      - 0
    .max_flat_workgroup_size: 256
    .name:           _Z6kernelI23warp_striped_to_blockedN15benchmark_utils11custom_typeIffEELj256ELj1ELj100EEvPKT0_PKjPS4_
    .private_segment_fixed_size: 0
    .sgpr_count:     18
    .sgpr_spill_count: 0
    .symbol:         _Z6kernelI23warp_striped_to_blockedN15benchmark_utils11custom_typeIffEELj256ELj1ELj100EEvPKT0_PKjPS4_.kd
    .uniform_work_group_size: 1
    .uses_dynamic_stack: false
    .vgpr_count:     5
    .vgpr_spill_count: 0
    .wavefront_size: 32
    .workgroup_processor_mode: 1
  - .args:
      - .address_space:  global
        .offset:         0
        .size:           8
        .value_kind:     global_buffer
      - .address_space:  global
        .offset:         8
        .size:           8
        .value_kind:     global_buffer
      - .address_space:  global
        .offset:         16
        .size:           8
        .value_kind:     global_buffer
    .group_segment_fixed_size: 4224
    .kernarg_segment_align: 8
    .kernarg_segment_size: 24
    .language:       OpenCL C
    .language_version:
      - 2
      - 0
    .max_flat_workgroup_size: 256
    .name:           _Z6kernelI23warp_striped_to_blockedN15benchmark_utils11custom_typeIffEELj256ELj2ELj100EEvPKT0_PKjPS4_
    .private_segment_fixed_size: 0
    .sgpr_count:     18
    .sgpr_spill_count: 0
    .symbol:         _Z6kernelI23warp_striped_to_blockedN15benchmark_utils11custom_typeIffEELj256ELj2ELj100EEvPKT0_PKjPS4_.kd
    .uniform_work_group_size: 1
    .uses_dynamic_stack: false
    .vgpr_count:     11
    .vgpr_spill_count: 0
    .wavefront_size: 32
    .workgroup_processor_mode: 1
  - .args:
      - .address_space:  global
        .offset:         0
        .size:           8
        .value_kind:     global_buffer
      - .address_space:  global
        .offset:         8
        .size:           8
        .value_kind:     global_buffer
      - .address_space:  global
        .offset:         16
        .size:           8
        .value_kind:     global_buffer
    .group_segment_fixed_size: 6144
    .kernarg_segment_align: 8
    .kernarg_segment_size: 24
    .language:       OpenCL C
    .language_version:
      - 2
      - 0
    .max_flat_workgroup_size: 256
    .name:           _Z6kernelI23warp_striped_to_blockedN15benchmark_utils11custom_typeIffEELj256ELj3ELj100EEvPKT0_PKjPS4_
    .private_segment_fixed_size: 0
    .sgpr_count:     18
    .sgpr_spill_count: 0
    .symbol:         _Z6kernelI23warp_striped_to_blockedN15benchmark_utils11custom_typeIffEELj256ELj3ELj100EEvPKT0_PKjPS4_.kd
    .uniform_work_group_size: 1
    .uses_dynamic_stack: false
    .vgpr_count:     11
    .vgpr_spill_count: 0
    .wavefront_size: 32
    .workgroup_processor_mode: 1
  - .args:
      - .address_space:  global
        .offset:         0
        .size:           8
        .value_kind:     global_buffer
      - .address_space:  global
        .offset:         8
        .size:           8
        .value_kind:     global_buffer
      - .address_space:  global
        .offset:         16
        .size:           8
        .value_kind:     global_buffer
    .group_segment_fixed_size: 8448
    .kernarg_segment_align: 8
    .kernarg_segment_size: 24
    .language:       OpenCL C
    .language_version:
      - 2
      - 0
    .max_flat_workgroup_size: 256
    .name:           _Z6kernelI23warp_striped_to_blockedN15benchmark_utils11custom_typeIffEELj256ELj4ELj100EEvPKT0_PKjPS4_
    .private_segment_fixed_size: 0
    .sgpr_count:     18
    .sgpr_spill_count: 0
    .symbol:         _Z6kernelI23warp_striped_to_blockedN15benchmark_utils11custom_typeIffEELj256ELj4ELj100EEvPKT0_PKjPS4_.kd
    .uniform_work_group_size: 1
    .uses_dynamic_stack: false
    .vgpr_count:     18
    .vgpr_spill_count: 0
    .wavefront_size: 32
    .workgroup_processor_mode: 1
  - .args:
      - .address_space:  global
        .offset:         0
        .size:           8
        .value_kind:     global_buffer
      - .address_space:  global
        .offset:         8
        .size:           8
        .value_kind:     global_buffer
      - .address_space:  global
        .offset:         16
        .size:           8
        .value_kind:     global_buffer
    .group_segment_fixed_size: 14336
    .kernarg_segment_align: 8
    .kernarg_segment_size: 24
    .language:       OpenCL C
    .language_version:
      - 2
      - 0
    .max_flat_workgroup_size: 256
    .name:           _Z6kernelI23warp_striped_to_blockedN15benchmark_utils11custom_typeIffEELj256ELj7ELj100EEvPKT0_PKjPS4_
    .private_segment_fixed_size: 0
    .sgpr_count:     18
    .sgpr_spill_count: 0
    .symbol:         _Z6kernelI23warp_striped_to_blockedN15benchmark_utils11custom_typeIffEELj256ELj7ELj100EEvPKT0_PKjPS4_.kd
    .uniform_work_group_size: 1
    .uses_dynamic_stack: false
    .vgpr_count:     19
    .vgpr_spill_count: 0
    .wavefront_size: 32
    .workgroup_processor_mode: 1
  - .args:
      - .address_space:  global
        .offset:         0
        .size:           8
        .value_kind:     global_buffer
      - .address_space:  global
        .offset:         8
        .size:           8
        .value_kind:     global_buffer
      - .address_space:  global
        .offset:         16
        .size:           8
        .value_kind:     global_buffer
    .group_segment_fixed_size: 16896
    .kernarg_segment_align: 8
    .kernarg_segment_size: 24
    .language:       OpenCL C
    .language_version:
      - 2
      - 0
    .max_flat_workgroup_size: 256
    .name:           _Z6kernelI23warp_striped_to_blockedN15benchmark_utils11custom_typeIffEELj256ELj8ELj100EEvPKT0_PKjPS4_
    .private_segment_fixed_size: 0
    .sgpr_count:     18
    .sgpr_spill_count: 0
    .symbol:         _Z6kernelI23warp_striped_to_blockedN15benchmark_utils11custom_typeIffEELj256ELj8ELj100EEvPKT0_PKjPS4_.kd
    .uniform_work_group_size: 1
    .uses_dynamic_stack: false
    .vgpr_count:     30
    .vgpr_spill_count: 0
    .wavefront_size: 32
    .workgroup_processor_mode: 1
  - .args:
      - .address_space:  global
        .offset:         0
        .size:           8
        .value_kind:     global_buffer
      - .address_space:  global
        .offset:         8
        .size:           8
        .value_kind:     global_buffer
      - .address_space:  global
        .offset:         16
        .size:           8
        .value_kind:     global_buffer
    .group_segment_fixed_size: 4096
    .kernarg_segment_align: 8
    .kernarg_segment_size: 24
    .language:       OpenCL C
    .language_version:
      - 2
      - 0
    .max_flat_workgroup_size: 256
    .name:           _Z6kernelI23warp_striped_to_blockedN15benchmark_utils11custom_typeIddEELj256ELj1ELj100EEvPKT0_PKjPS4_
    .private_segment_fixed_size: 0
    .sgpr_count:     18
    .sgpr_spill_count: 0
    .symbol:         _Z6kernelI23warp_striped_to_blockedN15benchmark_utils11custom_typeIddEELj256ELj1ELj100EEvPKT0_PKjPS4_.kd
    .uniform_work_group_size: 1
    .uses_dynamic_stack: false
    .vgpr_count:     7
    .vgpr_spill_count: 0
    .wavefront_size: 32
    .workgroup_processor_mode: 1
  - .args:
      - .address_space:  global
        .offset:         0
        .size:           8
        .value_kind:     global_buffer
      - .address_space:  global
        .offset:         8
        .size:           8
        .value_kind:     global_buffer
      - .address_space:  global
        .offset:         16
        .size:           8
        .value_kind:     global_buffer
    .group_segment_fixed_size: 8448
    .kernarg_segment_align: 8
    .kernarg_segment_size: 24
    .language:       OpenCL C
    .language_version:
      - 2
      - 0
    .max_flat_workgroup_size: 256
    .name:           _Z6kernelI23warp_striped_to_blockedN15benchmark_utils11custom_typeIddEELj256ELj2ELj100EEvPKT0_PKjPS4_
    .private_segment_fixed_size: 0
    .sgpr_count:     18
    .sgpr_spill_count: 0
    .symbol:         _Z6kernelI23warp_striped_to_blockedN15benchmark_utils11custom_typeIddEELj256ELj2ELj100EEvPKT0_PKjPS4_.kd
    .uniform_work_group_size: 1
    .uses_dynamic_stack: false
    .vgpr_count:     15
    .vgpr_spill_count: 0
    .wavefront_size: 32
    .workgroup_processor_mode: 1
  - .args:
      - .address_space:  global
        .offset:         0
        .size:           8
        .value_kind:     global_buffer
      - .address_space:  global
        .offset:         8
        .size:           8
        .value_kind:     global_buffer
      - .address_space:  global
        .offset:         16
        .size:           8
        .value_kind:     global_buffer
    .group_segment_fixed_size: 12288
    .kernarg_segment_align: 8
    .kernarg_segment_size: 24
    .language:       OpenCL C
    .language_version:
      - 2
      - 0
    .max_flat_workgroup_size: 256
    .name:           _Z6kernelI23warp_striped_to_blockedN15benchmark_utils11custom_typeIddEELj256ELj3ELj100EEvPKT0_PKjPS4_
    .private_segment_fixed_size: 0
    .sgpr_count:     18
    .sgpr_spill_count: 0
    .symbol:         _Z6kernelI23warp_striped_to_blockedN15benchmark_utils11custom_typeIddEELj256ELj3ELj100EEvPKT0_PKjPS4_.kd
    .uniform_work_group_size: 1
    .uses_dynamic_stack: false
    .vgpr_count:     17
    .vgpr_spill_count: 0
    .wavefront_size: 32
    .workgroup_processor_mode: 1
  - .args:
      - .address_space:  global
        .offset:         0
        .size:           8
        .value_kind:     global_buffer
      - .address_space:  global
        .offset:         8
        .size:           8
        .value_kind:     global_buffer
      - .address_space:  global
        .offset:         16
        .size:           8
        .value_kind:     global_buffer
    .group_segment_fixed_size: 16896
    .kernarg_segment_align: 8
    .kernarg_segment_size: 24
    .language:       OpenCL C
    .language_version:
      - 2
      - 0
    .max_flat_workgroup_size: 256
    .name:           _Z6kernelI23warp_striped_to_blockedN15benchmark_utils11custom_typeIddEELj256ELj4ELj100EEvPKT0_PKjPS4_
    .private_segment_fixed_size: 0
    .sgpr_count:     18
    .sgpr_spill_count: 0
    .symbol:         _Z6kernelI23warp_striped_to_blockedN15benchmark_utils11custom_typeIddEELj256ELj4ELj100EEvPKT0_PKjPS4_.kd
    .uniform_work_group_size: 1
    .uses_dynamic_stack: false
    .vgpr_count:     26
    .vgpr_spill_count: 0
    .wavefront_size: 32
    .workgroup_processor_mode: 1
  - .args:
      - .address_space:  global
        .offset:         0
        .size:           8
        .value_kind:     global_buffer
      - .address_space:  global
        .offset:         8
        .size:           8
        .value_kind:     global_buffer
      - .address_space:  global
        .offset:         16
        .size:           8
        .value_kind:     global_buffer
    .group_segment_fixed_size: 28672
    .kernarg_segment_align: 8
    .kernarg_segment_size: 24
    .language:       OpenCL C
    .language_version:
      - 2
      - 0
    .max_flat_workgroup_size: 256
    .name:           _Z6kernelI23warp_striped_to_blockedN15benchmark_utils11custom_typeIddEELj256ELj7ELj100EEvPKT0_PKjPS4_
    .private_segment_fixed_size: 0
    .sgpr_count:     18
    .sgpr_spill_count: 0
    .symbol:         _Z6kernelI23warp_striped_to_blockedN15benchmark_utils11custom_typeIddEELj256ELj7ELj100EEvPKT0_PKjPS4_.kd
    .uniform_work_group_size: 1
    .uses_dynamic_stack: false
    .vgpr_count:     33
    .vgpr_spill_count: 0
    .wavefront_size: 32
    .workgroup_processor_mode: 1
  - .args:
      - .address_space:  global
        .offset:         0
        .size:           8
        .value_kind:     global_buffer
      - .address_space:  global
        .offset:         8
        .size:           8
        .value_kind:     global_buffer
      - .address_space:  global
        .offset:         16
        .size:           8
        .value_kind:     global_buffer
    .group_segment_fixed_size: 33792
    .kernarg_segment_align: 8
    .kernarg_segment_size: 24
    .language:       OpenCL C
    .language_version:
      - 2
      - 0
    .max_flat_workgroup_size: 256
    .name:           _Z6kernelI23warp_striped_to_blockedN15benchmark_utils11custom_typeIddEELj256ELj8ELj100EEvPKT0_PKjPS4_
    .private_segment_fixed_size: 0
    .sgpr_count:     18
    .sgpr_spill_count: 0
    .symbol:         _Z6kernelI23warp_striped_to_blockedN15benchmark_utils11custom_typeIddEELj256ELj8ELj100EEvPKT0_PKjPS4_.kd
    .uniform_work_group_size: 1
    .uses_dynamic_stack: false
    .vgpr_count:     46
    .vgpr_spill_count: 0
    .wavefront_size: 32
    .workgroup_processor_mode: 1
  - .args:
      - .address_space:  global
        .offset:         0
        .size:           8
        .value_kind:     global_buffer
      - .address_space:  global
        .offset:         8
        .size:           8
        .value_kind:     global_buffer
      - .address_space:  global
        .offset:         16
        .size:           8
        .value_kind:     global_buffer
    .group_segment_fixed_size: 1024
    .kernarg_segment_align: 8
    .kernarg_segment_size: 24
    .language:       OpenCL C
    .language_version:
      - 2
      - 0
    .max_flat_workgroup_size: 256
    .name:           _Z6kernelI18scatter_to_blockediLj256ELj1ELj100EEvPKT0_PKjPS1_
    .private_segment_fixed_size: 0
    .sgpr_count:     16
    .sgpr_spill_count: 0
    .symbol:         _Z6kernelI18scatter_to_blockediLj256ELj1ELj100EEvPKT0_PKjPS1_.kd
    .uniform_work_group_size: 1
    .uses_dynamic_stack: false
    .vgpr_count:     4
    .vgpr_spill_count: 0
    .wavefront_size: 32
    .workgroup_processor_mode: 1
  - .args:
      - .address_space:  global
        .offset:         0
        .size:           8
        .value_kind:     global_buffer
      - .address_space:  global
        .offset:         8
        .size:           8
        .value_kind:     global_buffer
      - .address_space:  global
        .offset:         16
        .size:           8
        .value_kind:     global_buffer
    .group_segment_fixed_size: 2112
    .kernarg_segment_align: 8
    .kernarg_segment_size: 24
    .language:       OpenCL C
    .language_version:
      - 2
      - 0
    .max_flat_workgroup_size: 256
    .name:           _Z6kernelI18scatter_to_blockediLj256ELj2ELj100EEvPKT0_PKjPS1_
    .private_segment_fixed_size: 0
    .sgpr_count:     16
    .sgpr_spill_count: 0
    .symbol:         _Z6kernelI18scatter_to_blockediLj256ELj2ELj100EEvPKT0_PKjPS1_.kd
    .uniform_work_group_size: 1
    .uses_dynamic_stack: false
    .vgpr_count:     9
    .vgpr_spill_count: 0
    .wavefront_size: 32
    .workgroup_processor_mode: 1
  - .args:
      - .address_space:  global
        .offset:         0
        .size:           8
        .value_kind:     global_buffer
      - .address_space:  global
        .offset:         8
        .size:           8
        .value_kind:     global_buffer
      - .address_space:  global
        .offset:         16
        .size:           8
        .value_kind:     global_buffer
    .group_segment_fixed_size: 3072
    .kernarg_segment_align: 8
    .kernarg_segment_size: 24
    .language:       OpenCL C
    .language_version:
      - 2
      - 0
    .max_flat_workgroup_size: 256
    .name:           _Z6kernelI18scatter_to_blockediLj256ELj3ELj100EEvPKT0_PKjPS1_
    .private_segment_fixed_size: 0
    .sgpr_count:     16
    .sgpr_spill_count: 0
    .symbol:         _Z6kernelI18scatter_to_blockediLj256ELj3ELj100EEvPKT0_PKjPS1_.kd
    .uniform_work_group_size: 1
    .uses_dynamic_stack: false
    .vgpr_count:     7
    .vgpr_spill_count: 0
    .wavefront_size: 32
    .workgroup_processor_mode: 1
  - .args:
      - .address_space:  global
        .offset:         0
        .size:           8
        .value_kind:     global_buffer
      - .address_space:  global
        .offset:         8
        .size:           8
        .value_kind:     global_buffer
      - .address_space:  global
        .offset:         16
        .size:           8
        .value_kind:     global_buffer
    .group_segment_fixed_size: 4224
    .kernarg_segment_align: 8
    .kernarg_segment_size: 24
    .language:       OpenCL C
    .language_version:
      - 2
      - 0
    .max_flat_workgroup_size: 256
    .name:           _Z6kernelI18scatter_to_blockediLj256ELj4ELj100EEvPKT0_PKjPS1_
    .private_segment_fixed_size: 0
    .sgpr_count:     16
    .sgpr_spill_count: 0
    .symbol:         _Z6kernelI18scatter_to_blockediLj256ELj4ELj100EEvPKT0_PKjPS1_.kd
    .uniform_work_group_size: 1
    .uses_dynamic_stack: false
    .vgpr_count:     15
    .vgpr_spill_count: 0
    .wavefront_size: 32
    .workgroup_processor_mode: 1
  - .args:
      - .address_space:  global
        .offset:         0
        .size:           8
        .value_kind:     global_buffer
      - .address_space:  global
        .offset:         8
        .size:           8
        .value_kind:     global_buffer
      - .address_space:  global
        .offset:         16
        .size:           8
        .value_kind:     global_buffer
    .group_segment_fixed_size: 7168
    .kernarg_segment_align: 8
    .kernarg_segment_size: 24
    .language:       OpenCL C
    .language_version:
      - 2
      - 0
    .max_flat_workgroup_size: 256
    .name:           _Z6kernelI18scatter_to_blockediLj256ELj7ELj100EEvPKT0_PKjPS1_
    .private_segment_fixed_size: 0
    .sgpr_count:     18
    .sgpr_spill_count: 0
    .symbol:         _Z6kernelI18scatter_to_blockediLj256ELj7ELj100EEvPKT0_PKjPS1_.kd
    .uniform_work_group_size: 1
    .uses_dynamic_stack: false
    .vgpr_count:     16
    .vgpr_spill_count: 0
    .wavefront_size: 32
    .workgroup_processor_mode: 1
  - .args:
      - .address_space:  global
        .offset:         0
        .size:           8
        .value_kind:     global_buffer
      - .address_space:  global
        .offset:         8
        .size:           8
        .value_kind:     global_buffer
      - .address_space:  global
        .offset:         16
        .size:           8
        .value_kind:     global_buffer
    .group_segment_fixed_size: 8448
    .kernarg_segment_align: 8
    .kernarg_segment_size: 24
    .language:       OpenCL C
    .language_version:
      - 2
      - 0
    .max_flat_workgroup_size: 256
    .name:           _Z6kernelI18scatter_to_blockediLj256ELj8ELj100EEvPKT0_PKjPS1_
    .private_segment_fixed_size: 0
    .sgpr_count:     18
    .sgpr_spill_count: 0
    .symbol:         _Z6kernelI18scatter_to_blockediLj256ELj8ELj100EEvPKT0_PKjPS1_.kd
    .uniform_work_group_size: 1
    .uses_dynamic_stack: false
    .vgpr_count:     25
    .vgpr_spill_count: 0
    .wavefront_size: 32
    .workgroup_processor_mode: 1
  - .args:
      - .address_space:  global
        .offset:         0
        .size:           8
        .value_kind:     global_buffer
      - .address_space:  global
        .offset:         8
        .size:           8
        .value_kind:     global_buffer
      - .address_space:  global
        .offset:         16
        .size:           8
        .value_kind:     global_buffer
    .group_segment_fixed_size: 256
    .kernarg_segment_align: 8
    .kernarg_segment_size: 24
    .language:       OpenCL C
    .language_version:
      - 2
      - 0
    .max_flat_workgroup_size: 256
    .name:           _Z6kernelI18scatter_to_blockedaLj256ELj1ELj100EEvPKT0_PKjPS1_
    .private_segment_fixed_size: 0
    .sgpr_count:     16
    .sgpr_spill_count: 0
    .symbol:         _Z6kernelI18scatter_to_blockedaLj256ELj1ELj100EEvPKT0_PKjPS1_.kd
    .uniform_work_group_size: 1
    .uses_dynamic_stack: false
    .vgpr_count:     4
    .vgpr_spill_count: 0
    .wavefront_size: 32
    .workgroup_processor_mode: 1
  - .args:
      - .address_space:  global
        .offset:         0
        .size:           8
        .value_kind:     global_buffer
      - .address_space:  global
        .offset:         8
        .size:           8
        .value_kind:     global_buffer
      - .address_space:  global
        .offset:         16
        .size:           8
        .value_kind:     global_buffer
    .group_segment_fixed_size: 528
    .kernarg_segment_align: 8
    .kernarg_segment_size: 24
    .language:       OpenCL C
    .language_version:
      - 2
      - 0
    .max_flat_workgroup_size: 256
    .name:           _Z6kernelI18scatter_to_blockedaLj256ELj2ELj100EEvPKT0_PKjPS1_
    .private_segment_fixed_size: 0
    .sgpr_count:     16
    .sgpr_spill_count: 0
    .symbol:         _Z6kernelI18scatter_to_blockedaLj256ELj2ELj100EEvPKT0_PKjPS1_.kd
    .uniform_work_group_size: 1
    .uses_dynamic_stack: false
    .vgpr_count:     8
    .vgpr_spill_count: 0
    .wavefront_size: 32
    .workgroup_processor_mode: 1
  - .args:
      - .address_space:  global
        .offset:         0
        .size:           8
        .value_kind:     global_buffer
      - .address_space:  global
        .offset:         8
        .size:           8
        .value_kind:     global_buffer
      - .address_space:  global
        .offset:         16
        .size:           8
        .value_kind:     global_buffer
    .group_segment_fixed_size: 768
    .kernarg_segment_align: 8
    .kernarg_segment_size: 24
    .language:       OpenCL C
    .language_version:
      - 2
      - 0
    .max_flat_workgroup_size: 256
    .name:           _Z6kernelI18scatter_to_blockedaLj256ELj3ELj100EEvPKT0_PKjPS1_
    .private_segment_fixed_size: 0
    .sgpr_count:     16
    .sgpr_spill_count: 0
    .symbol:         _Z6kernelI18scatter_to_blockedaLj256ELj3ELj100EEvPKT0_PKjPS1_.kd
    .uniform_work_group_size: 1
    .uses_dynamic_stack: false
    .vgpr_count:     8
    .vgpr_spill_count: 0
    .wavefront_size: 32
    .workgroup_processor_mode: 1
  - .args:
      - .address_space:  global
        .offset:         0
        .size:           8
        .value_kind:     global_buffer
      - .address_space:  global
        .offset:         8
        .size:           8
        .value_kind:     global_buffer
      - .address_space:  global
        .offset:         16
        .size:           8
        .value_kind:     global_buffer
    .group_segment_fixed_size: 1056
    .kernarg_segment_align: 8
    .kernarg_segment_size: 24
    .language:       OpenCL C
    .language_version:
      - 2
      - 0
    .max_flat_workgroup_size: 256
    .name:           _Z6kernelI18scatter_to_blockedaLj256ELj4ELj100EEvPKT0_PKjPS1_
    .private_segment_fixed_size: 0
    .sgpr_count:     16
    .sgpr_spill_count: 0
    .symbol:         _Z6kernelI18scatter_to_blockedaLj256ELj4ELj100EEvPKT0_PKjPS1_.kd
    .uniform_work_group_size: 1
    .uses_dynamic_stack: false
    .vgpr_count:     14
    .vgpr_spill_count: 0
    .wavefront_size: 32
    .workgroup_processor_mode: 1
  - .args:
      - .address_space:  global
        .offset:         0
        .size:           8
        .value_kind:     global_buffer
      - .address_space:  global
        .offset:         8
        .size:           8
        .value_kind:     global_buffer
      - .address_space:  global
        .offset:         16
        .size:           8
        .value_kind:     global_buffer
    .group_segment_fixed_size: 1792
    .kernarg_segment_align: 8
    .kernarg_segment_size: 24
    .language:       OpenCL C
    .language_version:
      - 2
      - 0
    .max_flat_workgroup_size: 256
    .name:           _Z6kernelI18scatter_to_blockedaLj256ELj7ELj100EEvPKT0_PKjPS1_
    .private_segment_fixed_size: 0
    .sgpr_count:     18
    .sgpr_spill_count: 0
    .symbol:         _Z6kernelI18scatter_to_blockedaLj256ELj7ELj100EEvPKT0_PKjPS1_.kd
    .uniform_work_group_size: 1
    .uses_dynamic_stack: false
    .vgpr_count:     16
    .vgpr_spill_count: 0
    .wavefront_size: 32
    .workgroup_processor_mode: 1
  - .args:
      - .address_space:  global
        .offset:         0
        .size:           8
        .value_kind:     global_buffer
      - .address_space:  global
        .offset:         8
        .size:           8
        .value_kind:     global_buffer
      - .address_space:  global
        .offset:         16
        .size:           8
        .value_kind:     global_buffer
    .group_segment_fixed_size: 2112
    .kernarg_segment_align: 8
    .kernarg_segment_size: 24
    .language:       OpenCL C
    .language_version:
      - 2
      - 0
    .max_flat_workgroup_size: 256
    .name:           _Z6kernelI18scatter_to_blockedaLj256ELj8ELj100EEvPKT0_PKjPS1_
    .private_segment_fixed_size: 0
    .sgpr_count:     18
    .sgpr_spill_count: 0
    .symbol:         _Z6kernelI18scatter_to_blockedaLj256ELj8ELj100EEvPKT0_PKjPS1_.kd
    .uniform_work_group_size: 1
    .uses_dynamic_stack: false
    .vgpr_count:     24
    .vgpr_spill_count: 0
    .wavefront_size: 32
    .workgroup_processor_mode: 1
  - .args:
      - .address_space:  global
        .offset:         0
        .size:           8
        .value_kind:     global_buffer
      - .address_space:  global
        .offset:         8
        .size:           8
        .value_kind:     global_buffer
      - .address_space:  global
        .offset:         16
        .size:           8
        .value_kind:     global_buffer
    .group_segment_fixed_size: 2048
    .kernarg_segment_align: 8
    .kernarg_segment_size: 24
    .language:       OpenCL C
    .language_version:
      - 2
      - 0
    .max_flat_workgroup_size: 256
    .name:           _Z6kernelI18scatter_to_blockedxLj256ELj1ELj100EEvPKT0_PKjPS1_
    .private_segment_fixed_size: 0
    .sgpr_count:     16
    .sgpr_spill_count: 0
    .symbol:         _Z6kernelI18scatter_to_blockedxLj256ELj1ELj100EEvPKT0_PKjPS1_.kd
    .uniform_work_group_size: 1
    .uses_dynamic_stack: false
    .vgpr_count:     5
    .vgpr_spill_count: 0
    .wavefront_size: 32
    .workgroup_processor_mode: 1
  - .args:
      - .address_space:  global
        .offset:         0
        .size:           8
        .value_kind:     global_buffer
      - .address_space:  global
        .offset:         8
        .size:           8
        .value_kind:     global_buffer
      - .address_space:  global
        .offset:         16
        .size:           8
        .value_kind:     global_buffer
    .group_segment_fixed_size: 4224
    .kernarg_segment_align: 8
    .kernarg_segment_size: 24
    .language:       OpenCL C
    .language_version:
      - 2
      - 0
    .max_flat_workgroup_size: 256
    .name:           _Z6kernelI18scatter_to_blockedxLj256ELj2ELj100EEvPKT0_PKjPS1_
    .private_segment_fixed_size: 0
    .sgpr_count:     16
    .sgpr_spill_count: 0
    .symbol:         _Z6kernelI18scatter_to_blockedxLj256ELj2ELj100EEvPKT0_PKjPS1_.kd
    .uniform_work_group_size: 1
    .uses_dynamic_stack: false
    .vgpr_count:     11
    .vgpr_spill_count: 0
    .wavefront_size: 32
    .workgroup_processor_mode: 1
  - .args:
      - .address_space:  global
        .offset:         0
        .size:           8
        .value_kind:     global_buffer
      - .address_space:  global
        .offset:         8
        .size:           8
        .value_kind:     global_buffer
      - .address_space:  global
        .offset:         16
        .size:           8
        .value_kind:     global_buffer
    .group_segment_fixed_size: 6144
    .kernarg_segment_align: 8
    .kernarg_segment_size: 24
    .language:       OpenCL C
    .language_version:
      - 2
      - 0
    .max_flat_workgroup_size: 256
    .name:           _Z6kernelI18scatter_to_blockedxLj256ELj3ELj100EEvPKT0_PKjPS1_
    .private_segment_fixed_size: 0
    .sgpr_count:     18
    .sgpr_spill_count: 0
    .symbol:         _Z6kernelI18scatter_to_blockedxLj256ELj3ELj100EEvPKT0_PKjPS1_.kd
    .uniform_work_group_size: 1
    .uses_dynamic_stack: false
    .vgpr_count:     10
    .vgpr_spill_count: 0
    .wavefront_size: 32
    .workgroup_processor_mode: 1
  - .args:
      - .address_space:  global
        .offset:         0
        .size:           8
        .value_kind:     global_buffer
      - .address_space:  global
        .offset:         8
        .size:           8
        .value_kind:     global_buffer
      - .address_space:  global
        .offset:         16
        .size:           8
        .value_kind:     global_buffer
    .group_segment_fixed_size: 8448
    .kernarg_segment_align: 8
    .kernarg_segment_size: 24
    .language:       OpenCL C
    .language_version:
      - 2
      - 0
    .max_flat_workgroup_size: 256
    .name:           _Z6kernelI18scatter_to_blockedxLj256ELj4ELj100EEvPKT0_PKjPS1_
    .private_segment_fixed_size: 0
    .sgpr_count:     18
    .sgpr_spill_count: 0
    .symbol:         _Z6kernelI18scatter_to_blockedxLj256ELj4ELj100EEvPKT0_PKjPS1_.kd
    .uniform_work_group_size: 1
    .uses_dynamic_stack: false
    .vgpr_count:     19
    .vgpr_spill_count: 0
    .wavefront_size: 32
    .workgroup_processor_mode: 1
  - .args:
      - .address_space:  global
        .offset:         0
        .size:           8
        .value_kind:     global_buffer
      - .address_space:  global
        .offset:         8
        .size:           8
        .value_kind:     global_buffer
      - .address_space:  global
        .offset:         16
        .size:           8
        .value_kind:     global_buffer
    .group_segment_fixed_size: 14336
    .kernarg_segment_align: 8
    .kernarg_segment_size: 24
    .language:       OpenCL C
    .language_version:
      - 2
      - 0
    .max_flat_workgroup_size: 256
    .name:           _Z6kernelI18scatter_to_blockedxLj256ELj7ELj100EEvPKT0_PKjPS1_
    .private_segment_fixed_size: 0
    .sgpr_count:     18
    .sgpr_spill_count: 0
    .symbol:         _Z6kernelI18scatter_to_blockedxLj256ELj7ELj100EEvPKT0_PKjPS1_.kd
    .uniform_work_group_size: 1
    .uses_dynamic_stack: false
    .vgpr_count:     22
    .vgpr_spill_count: 0
    .wavefront_size: 32
    .workgroup_processor_mode: 1
  - .args:
      - .address_space:  global
        .offset:         0
        .size:           8
        .value_kind:     global_buffer
      - .address_space:  global
        .offset:         8
        .size:           8
        .value_kind:     global_buffer
      - .address_space:  global
        .offset:         16
        .size:           8
        .value_kind:     global_buffer
    .group_segment_fixed_size: 16896
    .kernarg_segment_align: 8
    .kernarg_segment_size: 24
    .language:       OpenCL C
    .language_version:
      - 2
      - 0
    .max_flat_workgroup_size: 256
    .name:           _Z6kernelI18scatter_to_blockedxLj256ELj8ELj100EEvPKT0_PKjPS1_
    .private_segment_fixed_size: 0
    .sgpr_count:     18
    .sgpr_spill_count: 0
    .symbol:         _Z6kernelI18scatter_to_blockedxLj256ELj8ELj100EEvPKT0_PKjPS1_.kd
    .uniform_work_group_size: 1
    .uses_dynamic_stack: false
    .vgpr_count:     33
    .vgpr_spill_count: 0
    .wavefront_size: 32
    .workgroup_processor_mode: 1
  - .args:
      - .address_space:  global
        .offset:         0
        .size:           8
        .value_kind:     global_buffer
      - .address_space:  global
        .offset:         8
        .size:           8
        .value_kind:     global_buffer
      - .address_space:  global
        .offset:         16
        .size:           8
        .value_kind:     global_buffer
    .group_segment_fixed_size: 2048
    .kernarg_segment_align: 8
    .kernarg_segment_size: 24
    .language:       OpenCL C
    .language_version:
      - 2
      - 0
    .max_flat_workgroup_size: 256
    .name:           _Z6kernelI18scatter_to_blockedN15benchmark_utils11custom_typeIffEELj256ELj1ELj100EEvPKT0_PKjPS4_
    .private_segment_fixed_size: 0
    .sgpr_count:     16
    .sgpr_spill_count: 0
    .symbol:         _Z6kernelI18scatter_to_blockedN15benchmark_utils11custom_typeIffEELj256ELj1ELj100EEvPKT0_PKjPS4_.kd
    .uniform_work_group_size: 1
    .uses_dynamic_stack: false
    .vgpr_count:     5
    .vgpr_spill_count: 0
    .wavefront_size: 32
    .workgroup_processor_mode: 1
  - .args:
      - .address_space:  global
        .offset:         0
        .size:           8
        .value_kind:     global_buffer
      - .address_space:  global
        .offset:         8
        .size:           8
        .value_kind:     global_buffer
      - .address_space:  global
        .offset:         16
        .size:           8
        .value_kind:     global_buffer
    .group_segment_fixed_size: 4224
    .kernarg_segment_align: 8
    .kernarg_segment_size: 24
    .language:       OpenCL C
    .language_version:
      - 2
      - 0
    .max_flat_workgroup_size: 256
    .name:           _Z6kernelI18scatter_to_blockedN15benchmark_utils11custom_typeIffEELj256ELj2ELj100EEvPKT0_PKjPS4_
    .private_segment_fixed_size: 0
    .sgpr_count:     16
    .sgpr_spill_count: 0
    .symbol:         _Z6kernelI18scatter_to_blockedN15benchmark_utils11custom_typeIffEELj256ELj2ELj100EEvPKT0_PKjPS4_.kd
    .uniform_work_group_size: 1
    .uses_dynamic_stack: false
    .vgpr_count:     11
    .vgpr_spill_count: 0
    .wavefront_size: 32
    .workgroup_processor_mode: 1
  - .args:
      - .address_space:  global
        .offset:         0
        .size:           8
        .value_kind:     global_buffer
      - .address_space:  global
        .offset:         8
        .size:           8
        .value_kind:     global_buffer
      - .address_space:  global
        .offset:         16
        .size:           8
        .value_kind:     global_buffer
    .group_segment_fixed_size: 6144
    .kernarg_segment_align: 8
    .kernarg_segment_size: 24
    .language:       OpenCL C
    .language_version:
      - 2
      - 0
    .max_flat_workgroup_size: 256
    .name:           _Z6kernelI18scatter_to_blockedN15benchmark_utils11custom_typeIffEELj256ELj3ELj100EEvPKT0_PKjPS4_
    .private_segment_fixed_size: 0
    .sgpr_count:     18
    .sgpr_spill_count: 0
    .symbol:         _Z6kernelI18scatter_to_blockedN15benchmark_utils11custom_typeIffEELj256ELj3ELj100EEvPKT0_PKjPS4_.kd
    .uniform_work_group_size: 1
    .uses_dynamic_stack: false
    .vgpr_count:     10
    .vgpr_spill_count: 0
    .wavefront_size: 32
    .workgroup_processor_mode: 1
  - .args:
      - .address_space:  global
        .offset:         0
        .size:           8
        .value_kind:     global_buffer
      - .address_space:  global
        .offset:         8
        .size:           8
        .value_kind:     global_buffer
      - .address_space:  global
        .offset:         16
        .size:           8
        .value_kind:     global_buffer
    .group_segment_fixed_size: 8448
    .kernarg_segment_align: 8
    .kernarg_segment_size: 24
    .language:       OpenCL C
    .language_version:
      - 2
      - 0
    .max_flat_workgroup_size: 256
    .name:           _Z6kernelI18scatter_to_blockedN15benchmark_utils11custom_typeIffEELj256ELj4ELj100EEvPKT0_PKjPS4_
    .private_segment_fixed_size: 0
    .sgpr_count:     18
    .sgpr_spill_count: 0
    .symbol:         _Z6kernelI18scatter_to_blockedN15benchmark_utils11custom_typeIffEELj256ELj4ELj100EEvPKT0_PKjPS4_.kd
    .uniform_work_group_size: 1
    .uses_dynamic_stack: false
    .vgpr_count:     19
    .vgpr_spill_count: 0
    .wavefront_size: 32
    .workgroup_processor_mode: 1
  - .args:
      - .address_space:  global
        .offset:         0
        .size:           8
        .value_kind:     global_buffer
      - .address_space:  global
        .offset:         8
        .size:           8
        .value_kind:     global_buffer
      - .address_space:  global
        .offset:         16
        .size:           8
        .value_kind:     global_buffer
    .group_segment_fixed_size: 14336
    .kernarg_segment_align: 8
    .kernarg_segment_size: 24
    .language:       OpenCL C
    .language_version:
      - 2
      - 0
    .max_flat_workgroup_size: 256
    .name:           _Z6kernelI18scatter_to_blockedN15benchmark_utils11custom_typeIffEELj256ELj7ELj100EEvPKT0_PKjPS4_
    .private_segment_fixed_size: 0
    .sgpr_count:     18
    .sgpr_spill_count: 0
    .symbol:         _Z6kernelI18scatter_to_blockedN15benchmark_utils11custom_typeIffEELj256ELj7ELj100EEvPKT0_PKjPS4_.kd
    .uniform_work_group_size: 1
    .uses_dynamic_stack: false
    .vgpr_count:     24
    .vgpr_spill_count: 0
    .wavefront_size: 32
    .workgroup_processor_mode: 1
  - .args:
      - .address_space:  global
        .offset:         0
        .size:           8
        .value_kind:     global_buffer
      - .address_space:  global
        .offset:         8
        .size:           8
        .value_kind:     global_buffer
      - .address_space:  global
        .offset:         16
        .size:           8
        .value_kind:     global_buffer
    .group_segment_fixed_size: 16896
    .kernarg_segment_align: 8
    .kernarg_segment_size: 24
    .language:       OpenCL C
    .language_version:
      - 2
      - 0
    .max_flat_workgroup_size: 256
    .name:           _Z6kernelI18scatter_to_blockedN15benchmark_utils11custom_typeIffEELj256ELj8ELj100EEvPKT0_PKjPS4_
    .private_segment_fixed_size: 0
    .sgpr_count:     18
    .sgpr_spill_count: 0
    .symbol:         _Z6kernelI18scatter_to_blockedN15benchmark_utils11custom_typeIffEELj256ELj8ELj100EEvPKT0_PKjPS4_.kd
    .uniform_work_group_size: 1
    .uses_dynamic_stack: false
    .vgpr_count:     33
    .vgpr_spill_count: 0
    .wavefront_size: 32
    .workgroup_processor_mode: 1
  - .args:
      - .address_space:  global
        .offset:         0
        .size:           8
        .value_kind:     global_buffer
      - .address_space:  global
        .offset:         8
        .size:           8
        .value_kind:     global_buffer
      - .address_space:  global
        .offset:         16
        .size:           8
        .value_kind:     global_buffer
    .group_segment_fixed_size: 4096
    .kernarg_segment_align: 8
    .kernarg_segment_size: 24
    .language:       OpenCL C
    .language_version:
      - 2
      - 0
    .max_flat_workgroup_size: 256
    .name:           _Z6kernelI18scatter_to_blockedN15benchmark_utils11custom_typeIddEELj256ELj1ELj100EEvPKT0_PKjPS4_
    .private_segment_fixed_size: 0
    .sgpr_count:     16
    .sgpr_spill_count: 0
    .symbol:         _Z6kernelI18scatter_to_blockedN15benchmark_utils11custom_typeIddEELj256ELj1ELj100EEvPKT0_PKjPS4_.kd
    .uniform_work_group_size: 1
    .uses_dynamic_stack: false
    .vgpr_count:     7
    .vgpr_spill_count: 0
    .wavefront_size: 32
    .workgroup_processor_mode: 1
  - .args:
      - .address_space:  global
        .offset:         0
        .size:           8
        .value_kind:     global_buffer
      - .address_space:  global
        .offset:         8
        .size:           8
        .value_kind:     global_buffer
      - .address_space:  global
        .offset:         16
        .size:           8
        .value_kind:     global_buffer
    .group_segment_fixed_size: 8448
    .kernarg_segment_align: 8
    .kernarg_segment_size: 24
    .language:       OpenCL C
    .language_version:
      - 2
      - 0
    .max_flat_workgroup_size: 256
    .name:           _Z6kernelI18scatter_to_blockedN15benchmark_utils11custom_typeIddEELj256ELj2ELj100EEvPKT0_PKjPS4_
    .private_segment_fixed_size: 0
    .sgpr_count:     18
    .sgpr_spill_count: 0
    .symbol:         _Z6kernelI18scatter_to_blockedN15benchmark_utils11custom_typeIddEELj256ELj2ELj100EEvPKT0_PKjPS4_.kd
    .uniform_work_group_size: 1
    .uses_dynamic_stack: false
    .vgpr_count:     15
    .vgpr_spill_count: 0
    .wavefront_size: 32
    .workgroup_processor_mode: 1
  - .args:
      - .address_space:  global
        .offset:         0
        .size:           8
        .value_kind:     global_buffer
      - .address_space:  global
        .offset:         8
        .size:           8
        .value_kind:     global_buffer
      - .address_space:  global
        .offset:         16
        .size:           8
        .value_kind:     global_buffer
    .group_segment_fixed_size: 12288
    .kernarg_segment_align: 8
    .kernarg_segment_size: 24
    .language:       OpenCL C
    .language_version:
      - 2
      - 0
    .max_flat_workgroup_size: 256
    .name:           _Z6kernelI18scatter_to_blockedN15benchmark_utils11custom_typeIddEELj256ELj3ELj100EEvPKT0_PKjPS4_
    .private_segment_fixed_size: 0
    .sgpr_count:     18
    .sgpr_spill_count: 0
    .symbol:         _Z6kernelI18scatter_to_blockedN15benchmark_utils11custom_typeIddEELj256ELj3ELj100EEvPKT0_PKjPS4_.kd
    .uniform_work_group_size: 1
    .uses_dynamic_stack: false
    .vgpr_count:     16
    .vgpr_spill_count: 0
    .wavefront_size: 32
    .workgroup_processor_mode: 1
  - .args:
      - .address_space:  global
        .offset:         0
        .size:           8
        .value_kind:     global_buffer
      - .address_space:  global
        .offset:         8
        .size:           8
        .value_kind:     global_buffer
      - .address_space:  global
        .offset:         16
        .size:           8
        .value_kind:     global_buffer
    .group_segment_fixed_size: 16896
    .kernarg_segment_align: 8
    .kernarg_segment_size: 24
    .language:       OpenCL C
    .language_version:
      - 2
      - 0
    .max_flat_workgroup_size: 256
    .name:           _Z6kernelI18scatter_to_blockedN15benchmark_utils11custom_typeIddEELj256ELj4ELj100EEvPKT0_PKjPS4_
    .private_segment_fixed_size: 0
    .sgpr_count:     18
    .sgpr_spill_count: 0
    .symbol:         _Z6kernelI18scatter_to_blockedN15benchmark_utils11custom_typeIddEELj256ELj4ELj100EEvPKT0_PKjPS4_.kd
    .uniform_work_group_size: 1
    .uses_dynamic_stack: false
    .vgpr_count:     27
    .vgpr_spill_count: 0
    .wavefront_size: 32
    .workgroup_processor_mode: 1
  - .args:
      - .address_space:  global
        .offset:         0
        .size:           8
        .value_kind:     global_buffer
      - .address_space:  global
        .offset:         8
        .size:           8
        .value_kind:     global_buffer
      - .address_space:  global
        .offset:         16
        .size:           8
        .value_kind:     global_buffer
    .group_segment_fixed_size: 28672
    .kernarg_segment_align: 8
    .kernarg_segment_size: 24
    .language:       OpenCL C
    .language_version:
      - 2
      - 0
    .max_flat_workgroup_size: 256
    .name:           _Z6kernelI18scatter_to_blockedN15benchmark_utils11custom_typeIddEELj256ELj7ELj100EEvPKT0_PKjPS4_
    .private_segment_fixed_size: 0
    .sgpr_count:     18
    .sgpr_spill_count: 0
    .symbol:         _Z6kernelI18scatter_to_blockedN15benchmark_utils11custom_typeIddEELj256ELj7ELj100EEvPKT0_PKjPS4_.kd
    .uniform_work_group_size: 1
    .uses_dynamic_stack: false
    .vgpr_count:     36
    .vgpr_spill_count: 0
    .wavefront_size: 32
    .workgroup_processor_mode: 1
  - .args:
      - .address_space:  global
        .offset:         0
        .size:           8
        .value_kind:     global_buffer
      - .address_space:  global
        .offset:         8
        .size:           8
        .value_kind:     global_buffer
      - .address_space:  global
        .offset:         16
        .size:           8
        .value_kind:     global_buffer
    .group_segment_fixed_size: 33792
    .kernarg_segment_align: 8
    .kernarg_segment_size: 24
    .language:       OpenCL C
    .language_version:
      - 2
      - 0
    .max_flat_workgroup_size: 256
    .name:           _Z6kernelI18scatter_to_blockedN15benchmark_utils11custom_typeIddEELj256ELj8ELj100EEvPKT0_PKjPS4_
    .private_segment_fixed_size: 0
    .sgpr_count:     18
    .sgpr_spill_count: 0
    .symbol:         _Z6kernelI18scatter_to_blockedN15benchmark_utils11custom_typeIddEELj256ELj8ELj100EEvPKT0_PKjPS4_.kd
    .uniform_work_group_size: 1
    .uses_dynamic_stack: false
    .vgpr_count:     49
    .vgpr_spill_count: 0
    .wavefront_size: 32
    .workgroup_processor_mode: 1
  - .args:
      - .address_space:  global
        .offset:         0
        .size:           8
        .value_kind:     global_buffer
      - .address_space:  global
        .offset:         8
        .size:           8
        .value_kind:     global_buffer
      - .address_space:  global
        .offset:         16
        .size:           8
        .value_kind:     global_buffer
    .group_segment_fixed_size: 1024
    .kernarg_segment_align: 8
    .kernarg_segment_size: 24
    .language:       OpenCL C
    .language_version:
      - 2
      - 0
    .max_flat_workgroup_size: 256
    .name:           _Z6kernelI18scatter_to_stripediLj256ELj1ELj100EEvPKT0_PKjPS1_
    .private_segment_fixed_size: 0
    .sgpr_count:     16
    .sgpr_spill_count: 0
    .symbol:         _Z6kernelI18scatter_to_stripediLj256ELj1ELj100EEvPKT0_PKjPS1_.kd
    .uniform_work_group_size: 1
    .uses_dynamic_stack: false
    .vgpr_count:     4
    .vgpr_spill_count: 0
    .wavefront_size: 32
    .workgroup_processor_mode: 1
  - .args:
      - .address_space:  global
        .offset:         0
        .size:           8
        .value_kind:     global_buffer
      - .address_space:  global
        .offset:         8
        .size:           8
        .value_kind:     global_buffer
      - .address_space:  global
        .offset:         16
        .size:           8
        .value_kind:     global_buffer
    .group_segment_fixed_size: 2112
    .kernarg_segment_align: 8
    .kernarg_segment_size: 24
    .language:       OpenCL C
    .language_version:
      - 2
      - 0
    .max_flat_workgroup_size: 256
    .name:           _Z6kernelI18scatter_to_stripediLj256ELj2ELj100EEvPKT0_PKjPS1_
    .private_segment_fixed_size: 0
    .sgpr_count:     16
    .sgpr_spill_count: 0
    .symbol:         _Z6kernelI18scatter_to_stripediLj256ELj2ELj100EEvPKT0_PKjPS1_.kd
    .uniform_work_group_size: 1
    .uses_dynamic_stack: false
    .vgpr_count:     6
    .vgpr_spill_count: 0
    .wavefront_size: 32
    .workgroup_processor_mode: 1
  - .args:
      - .address_space:  global
        .offset:         0
        .size:           8
        .value_kind:     global_buffer
      - .address_space:  global
        .offset:         8
        .size:           8
        .value_kind:     global_buffer
      - .address_space:  global
        .offset:         16
        .size:           8
        .value_kind:     global_buffer
    .group_segment_fixed_size: 3072
    .kernarg_segment_align: 8
    .kernarg_segment_size: 24
    .language:       OpenCL C
    .language_version:
      - 2
      - 0
    .max_flat_workgroup_size: 256
    .name:           _Z6kernelI18scatter_to_stripediLj256ELj3ELj100EEvPKT0_PKjPS1_
    .private_segment_fixed_size: 0
    .sgpr_count:     16
    .sgpr_spill_count: 0
    .symbol:         _Z6kernelI18scatter_to_stripediLj256ELj3ELj100EEvPKT0_PKjPS1_.kd
    .uniform_work_group_size: 1
    .uses_dynamic_stack: false
    .vgpr_count:     8
    .vgpr_spill_count: 0
    .wavefront_size: 32
    .workgroup_processor_mode: 1
  - .args:
      - .address_space:  global
        .offset:         0
        .size:           8
        .value_kind:     global_buffer
      - .address_space:  global
        .offset:         8
        .size:           8
        .value_kind:     global_buffer
      - .address_space:  global
        .offset:         16
        .size:           8
        .value_kind:     global_buffer
    .group_segment_fixed_size: 4224
    .kernarg_segment_align: 8
    .kernarg_segment_size: 24
    .language:       OpenCL C
    .language_version:
      - 2
      - 0
    .max_flat_workgroup_size: 256
    .name:           _Z6kernelI18scatter_to_stripediLj256ELj4ELj100EEvPKT0_PKjPS1_
    .private_segment_fixed_size: 0
    .sgpr_count:     16
    .sgpr_spill_count: 0
    .symbol:         _Z6kernelI18scatter_to_stripediLj256ELj4ELj100EEvPKT0_PKjPS1_.kd
    .uniform_work_group_size: 1
    .uses_dynamic_stack: false
    .vgpr_count:     10
    .vgpr_spill_count: 0
    .wavefront_size: 32
    .workgroup_processor_mode: 1
  - .args:
      - .address_space:  global
        .offset:         0
        .size:           8
        .value_kind:     global_buffer
      - .address_space:  global
        .offset:         8
        .size:           8
        .value_kind:     global_buffer
      - .address_space:  global
        .offset:         16
        .size:           8
        .value_kind:     global_buffer
    .group_segment_fixed_size: 7168
    .kernarg_segment_align: 8
    .kernarg_segment_size: 24
    .language:       OpenCL C
    .language_version:
      - 2
      - 0
    .max_flat_workgroup_size: 256
    .name:           _Z6kernelI18scatter_to_stripediLj256ELj7ELj100EEvPKT0_PKjPS1_
    .private_segment_fixed_size: 0
    .sgpr_count:     18
    .sgpr_spill_count: 0
    .symbol:         _Z6kernelI18scatter_to_stripediLj256ELj7ELj100EEvPKT0_PKjPS1_.kd
    .uniform_work_group_size: 1
    .uses_dynamic_stack: false
    .vgpr_count:     17
    .vgpr_spill_count: 0
    .wavefront_size: 32
    .workgroup_processor_mode: 1
  - .args:
      - .address_space:  global
        .offset:         0
        .size:           8
        .value_kind:     global_buffer
      - .address_space:  global
        .offset:         8
        .size:           8
        .value_kind:     global_buffer
      - .address_space:  global
        .offset:         16
        .size:           8
        .value_kind:     global_buffer
    .group_segment_fixed_size: 8448
    .kernarg_segment_align: 8
    .kernarg_segment_size: 24
    .language:       OpenCL C
    .language_version:
      - 2
      - 0
    .max_flat_workgroup_size: 256
    .name:           _Z6kernelI18scatter_to_stripediLj256ELj8ELj100EEvPKT0_PKjPS1_
    .private_segment_fixed_size: 0
    .sgpr_count:     18
    .sgpr_spill_count: 0
    .symbol:         _Z6kernelI18scatter_to_stripediLj256ELj8ELj100EEvPKT0_PKjPS1_.kd
    .uniform_work_group_size: 1
    .uses_dynamic_stack: false
    .vgpr_count:     20
    .vgpr_spill_count: 0
    .wavefront_size: 32
    .workgroup_processor_mode: 1
  - .args:
      - .address_space:  global
        .offset:         0
        .size:           8
        .value_kind:     global_buffer
      - .address_space:  global
        .offset:         8
        .size:           8
        .value_kind:     global_buffer
      - .address_space:  global
        .offset:         16
        .size:           8
        .value_kind:     global_buffer
    .group_segment_fixed_size: 256
    .kernarg_segment_align: 8
    .kernarg_segment_size: 24
    .language:       OpenCL C
    .language_version:
      - 2
      - 0
    .max_flat_workgroup_size: 256
    .name:           _Z6kernelI18scatter_to_stripedaLj256ELj1ELj100EEvPKT0_PKjPS1_
    .private_segment_fixed_size: 0
    .sgpr_count:     16
    .sgpr_spill_count: 0
    .symbol:         _Z6kernelI18scatter_to_stripedaLj256ELj1ELj100EEvPKT0_PKjPS1_.kd
    .uniform_work_group_size: 1
    .uses_dynamic_stack: false
    .vgpr_count:     4
    .vgpr_spill_count: 0
    .wavefront_size: 32
    .workgroup_processor_mode: 1
  - .args:
      - .address_space:  global
        .offset:         0
        .size:           8
        .value_kind:     global_buffer
      - .address_space:  global
        .offset:         8
        .size:           8
        .value_kind:     global_buffer
      - .address_space:  global
        .offset:         16
        .size:           8
        .value_kind:     global_buffer
    .group_segment_fixed_size: 528
    .kernarg_segment_align: 8
    .kernarg_segment_size: 24
    .language:       OpenCL C
    .language_version:
      - 2
      - 0
    .max_flat_workgroup_size: 256
    .name:           _Z6kernelI18scatter_to_stripedaLj256ELj2ELj100EEvPKT0_PKjPS1_
    .private_segment_fixed_size: 0
    .sgpr_count:     16
    .sgpr_spill_count: 0
    .symbol:         _Z6kernelI18scatter_to_stripedaLj256ELj2ELj100EEvPKT0_PKjPS1_.kd
    .uniform_work_group_size: 1
    .uses_dynamic_stack: false
    .vgpr_count:     6
    .vgpr_spill_count: 0
    .wavefront_size: 32
    .workgroup_processor_mode: 1
  - .args:
      - .address_space:  global
        .offset:         0
        .size:           8
        .value_kind:     global_buffer
      - .address_space:  global
        .offset:         8
        .size:           8
        .value_kind:     global_buffer
      - .address_space:  global
        .offset:         16
        .size:           8
        .value_kind:     global_buffer
    .group_segment_fixed_size: 768
    .kernarg_segment_align: 8
    .kernarg_segment_size: 24
    .language:       OpenCL C
    .language_version:
      - 2
      - 0
    .max_flat_workgroup_size: 256
    .name:           _Z6kernelI18scatter_to_stripedaLj256ELj3ELj100EEvPKT0_PKjPS1_
    .private_segment_fixed_size: 0
    .sgpr_count:     16
    .sgpr_spill_count: 0
    .symbol:         _Z6kernelI18scatter_to_stripedaLj256ELj3ELj100EEvPKT0_PKjPS1_.kd
    .uniform_work_group_size: 1
    .uses_dynamic_stack: false
    .vgpr_count:     9
    .vgpr_spill_count: 0
    .wavefront_size: 32
    .workgroup_processor_mode: 1
  - .args:
      - .address_space:  global
        .offset:         0
        .size:           8
        .value_kind:     global_buffer
      - .address_space:  global
        .offset:         8
        .size:           8
        .value_kind:     global_buffer
      - .address_space:  global
        .offset:         16
        .size:           8
        .value_kind:     global_buffer
    .group_segment_fixed_size: 1056
    .kernarg_segment_align: 8
    .kernarg_segment_size: 24
    .language:       OpenCL C
    .language_version:
      - 2
      - 0
    .max_flat_workgroup_size: 256
    .name:           _Z6kernelI18scatter_to_stripedaLj256ELj4ELj100EEvPKT0_PKjPS1_
    .private_segment_fixed_size: 0
    .sgpr_count:     16
    .sgpr_spill_count: 0
    .symbol:         _Z6kernelI18scatter_to_stripedaLj256ELj4ELj100EEvPKT0_PKjPS1_.kd
    .uniform_work_group_size: 1
    .uses_dynamic_stack: false
    .vgpr_count:     11
    .vgpr_spill_count: 0
    .wavefront_size: 32
    .workgroup_processor_mode: 1
  - .args:
      - .address_space:  global
        .offset:         0
        .size:           8
        .value_kind:     global_buffer
      - .address_space:  global
        .offset:         8
        .size:           8
        .value_kind:     global_buffer
      - .address_space:  global
        .offset:         16
        .size:           8
        .value_kind:     global_buffer
    .group_segment_fixed_size: 1792
    .kernarg_segment_align: 8
    .kernarg_segment_size: 24
    .language:       OpenCL C
    .language_version:
      - 2
      - 0
    .max_flat_workgroup_size: 256
    .name:           _Z6kernelI18scatter_to_stripedaLj256ELj7ELj100EEvPKT0_PKjPS1_
    .private_segment_fixed_size: 0
    .sgpr_count:     18
    .sgpr_spill_count: 0
    .symbol:         _Z6kernelI18scatter_to_stripedaLj256ELj7ELj100EEvPKT0_PKjPS1_.kd
    .uniform_work_group_size: 1
    .uses_dynamic_stack: false
    .vgpr_count:     17
    .vgpr_spill_count: 0
    .wavefront_size: 32
    .workgroup_processor_mode: 1
  - .args:
      - .address_space:  global
        .offset:         0
        .size:           8
        .value_kind:     global_buffer
      - .address_space:  global
        .offset:         8
        .size:           8
        .value_kind:     global_buffer
      - .address_space:  global
        .offset:         16
        .size:           8
        .value_kind:     global_buffer
    .group_segment_fixed_size: 2112
    .kernarg_segment_align: 8
    .kernarg_segment_size: 24
    .language:       OpenCL C
    .language_version:
      - 2
      - 0
    .max_flat_workgroup_size: 256
    .name:           _Z6kernelI18scatter_to_stripedaLj256ELj8ELj100EEvPKT0_PKjPS1_
    .private_segment_fixed_size: 0
    .sgpr_count:     18
    .sgpr_spill_count: 0
    .symbol:         _Z6kernelI18scatter_to_stripedaLj256ELj8ELj100EEvPKT0_PKjPS1_.kd
    .uniform_work_group_size: 1
    .uses_dynamic_stack: false
    .vgpr_count:     21
    .vgpr_spill_count: 0
    .wavefront_size: 32
    .workgroup_processor_mode: 1
  - .args:
      - .address_space:  global
        .offset:         0
        .size:           8
        .value_kind:     global_buffer
      - .address_space:  global
        .offset:         8
        .size:           8
        .value_kind:     global_buffer
      - .address_space:  global
        .offset:         16
        .size:           8
        .value_kind:     global_buffer
    .group_segment_fixed_size: 2048
    .kernarg_segment_align: 8
    .kernarg_segment_size: 24
    .language:       OpenCL C
    .language_version:
      - 2
      - 0
    .max_flat_workgroup_size: 256
    .name:           _Z6kernelI18scatter_to_stripedxLj256ELj1ELj100EEvPKT0_PKjPS1_
    .private_segment_fixed_size: 0
    .sgpr_count:     16
    .sgpr_spill_count: 0
    .symbol:         _Z6kernelI18scatter_to_stripedxLj256ELj1ELj100EEvPKT0_PKjPS1_.kd
    .uniform_work_group_size: 1
    .uses_dynamic_stack: false
    .vgpr_count:     5
    .vgpr_spill_count: 0
    .wavefront_size: 32
    .workgroup_processor_mode: 1
  - .args:
      - .address_space:  global
        .offset:         0
        .size:           8
        .value_kind:     global_buffer
      - .address_space:  global
        .offset:         8
        .size:           8
        .value_kind:     global_buffer
      - .address_space:  global
        .offset:         16
        .size:           8
        .value_kind:     global_buffer
    .group_segment_fixed_size: 4224
    .kernarg_segment_align: 8
    .kernarg_segment_size: 24
    .language:       OpenCL C
    .language_version:
      - 2
      - 0
    .max_flat_workgroup_size: 256
    .name:           _Z6kernelI18scatter_to_stripedxLj256ELj2ELj100EEvPKT0_PKjPS1_
    .private_segment_fixed_size: 0
    .sgpr_count:     16
    .sgpr_spill_count: 0
    .symbol:         _Z6kernelI18scatter_to_stripedxLj256ELj2ELj100EEvPKT0_PKjPS1_.kd
    .uniform_work_group_size: 1
    .uses_dynamic_stack: false
    .vgpr_count:     8
    .vgpr_spill_count: 0
    .wavefront_size: 32
    .workgroup_processor_mode: 1
  - .args:
      - .address_space:  global
        .offset:         0
        .size:           8
        .value_kind:     global_buffer
      - .address_space:  global
        .offset:         8
        .size:           8
        .value_kind:     global_buffer
      - .address_space:  global
        .offset:         16
        .size:           8
        .value_kind:     global_buffer
    .group_segment_fixed_size: 6144
    .kernarg_segment_align: 8
    .kernarg_segment_size: 24
    .language:       OpenCL C
    .language_version:
      - 2
      - 0
    .max_flat_workgroup_size: 256
    .name:           _Z6kernelI18scatter_to_stripedxLj256ELj3ELj100EEvPKT0_PKjPS1_
    .private_segment_fixed_size: 0
    .sgpr_count:     18
    .sgpr_spill_count: 0
    .symbol:         _Z6kernelI18scatter_to_stripedxLj256ELj3ELj100EEvPKT0_PKjPS1_.kd
    .uniform_work_group_size: 1
    .uses_dynamic_stack: false
    .vgpr_count:     11
    .vgpr_spill_count: 0
    .wavefront_size: 32
    .workgroup_processor_mode: 1
  - .args:
      - .address_space:  global
        .offset:         0
        .size:           8
        .value_kind:     global_buffer
      - .address_space:  global
        .offset:         8
        .size:           8
        .value_kind:     global_buffer
      - .address_space:  global
        .offset:         16
        .size:           8
        .value_kind:     global_buffer
    .group_segment_fixed_size: 8448
    .kernarg_segment_align: 8
    .kernarg_segment_size: 24
    .language:       OpenCL C
    .language_version:
      - 2
      - 0
    .max_flat_workgroup_size: 256
    .name:           _Z6kernelI18scatter_to_stripedxLj256ELj4ELj100EEvPKT0_PKjPS1_
    .private_segment_fixed_size: 0
    .sgpr_count:     18
    .sgpr_spill_count: 0
    .symbol:         _Z6kernelI18scatter_to_stripedxLj256ELj4ELj100EEvPKT0_PKjPS1_.kd
    .uniform_work_group_size: 1
    .uses_dynamic_stack: false
    .vgpr_count:     14
    .vgpr_spill_count: 0
    .wavefront_size: 32
    .workgroup_processor_mode: 1
  - .args:
      - .address_space:  global
        .offset:         0
        .size:           8
        .value_kind:     global_buffer
      - .address_space:  global
        .offset:         8
        .size:           8
        .value_kind:     global_buffer
      - .address_space:  global
        .offset:         16
        .size:           8
        .value_kind:     global_buffer
    .group_segment_fixed_size: 14336
    .kernarg_segment_align: 8
    .kernarg_segment_size: 24
    .language:       OpenCL C
    .language_version:
      - 2
      - 0
    .max_flat_workgroup_size: 256
    .name:           _Z6kernelI18scatter_to_stripedxLj256ELj7ELj100EEvPKT0_PKjPS1_
    .private_segment_fixed_size: 0
    .sgpr_count:     18
    .sgpr_spill_count: 0
    .symbol:         _Z6kernelI18scatter_to_stripedxLj256ELj7ELj100EEvPKT0_PKjPS1_.kd
    .uniform_work_group_size: 1
    .uses_dynamic_stack: false
    .vgpr_count:     24
    .vgpr_spill_count: 0
    .wavefront_size: 32
    .workgroup_processor_mode: 1
  - .args:
      - .address_space:  global
        .offset:         0
        .size:           8
        .value_kind:     global_buffer
      - .address_space:  global
        .offset:         8
        .size:           8
        .value_kind:     global_buffer
      - .address_space:  global
        .offset:         16
        .size:           8
        .value_kind:     global_buffer
    .group_segment_fixed_size: 16896
    .kernarg_segment_align: 8
    .kernarg_segment_size: 24
    .language:       OpenCL C
    .language_version:
      - 2
      - 0
    .max_flat_workgroup_size: 256
    .name:           _Z6kernelI18scatter_to_stripedxLj256ELj8ELj100EEvPKT0_PKjPS1_
    .private_segment_fixed_size: 0
    .sgpr_count:     18
    .sgpr_spill_count: 0
    .symbol:         _Z6kernelI18scatter_to_stripedxLj256ELj8ELj100EEvPKT0_PKjPS1_.kd
    .uniform_work_group_size: 1
    .uses_dynamic_stack: false
    .vgpr_count:     28
    .vgpr_spill_count: 0
    .wavefront_size: 32
    .workgroup_processor_mode: 1
  - .args:
      - .address_space:  global
        .offset:         0
        .size:           8
        .value_kind:     global_buffer
      - .address_space:  global
        .offset:         8
        .size:           8
        .value_kind:     global_buffer
      - .address_space:  global
        .offset:         16
        .size:           8
        .value_kind:     global_buffer
    .group_segment_fixed_size: 2048
    .kernarg_segment_align: 8
    .kernarg_segment_size: 24
    .language:       OpenCL C
    .language_version:
      - 2
      - 0
    .max_flat_workgroup_size: 256
    .name:           _Z6kernelI18scatter_to_stripedN15benchmark_utils11custom_typeIffEELj256ELj1ELj100EEvPKT0_PKjPS4_
    .private_segment_fixed_size: 0
    .sgpr_count:     16
    .sgpr_spill_count: 0
    .symbol:         _Z6kernelI18scatter_to_stripedN15benchmark_utils11custom_typeIffEELj256ELj1ELj100EEvPKT0_PKjPS4_.kd
    .uniform_work_group_size: 1
    .uses_dynamic_stack: false
    .vgpr_count:     5
    .vgpr_spill_count: 0
    .wavefront_size: 32
    .workgroup_processor_mode: 1
  - .args:
      - .address_space:  global
        .offset:         0
        .size:           8
        .value_kind:     global_buffer
      - .address_space:  global
        .offset:         8
        .size:           8
        .value_kind:     global_buffer
      - .address_space:  global
        .offset:         16
        .size:           8
        .value_kind:     global_buffer
    .group_segment_fixed_size: 4224
    .kernarg_segment_align: 8
    .kernarg_segment_size: 24
    .language:       OpenCL C
    .language_version:
      - 2
      - 0
    .max_flat_workgroup_size: 256
    .name:           _Z6kernelI18scatter_to_stripedN15benchmark_utils11custom_typeIffEELj256ELj2ELj100EEvPKT0_PKjPS4_
    .private_segment_fixed_size: 0
    .sgpr_count:     16
    .sgpr_spill_count: 0
    .symbol:         _Z6kernelI18scatter_to_stripedN15benchmark_utils11custom_typeIffEELj256ELj2ELj100EEvPKT0_PKjPS4_.kd
    .uniform_work_group_size: 1
    .uses_dynamic_stack: false
    .vgpr_count:     8
    .vgpr_spill_count: 0
    .wavefront_size: 32
    .workgroup_processor_mode: 1
  - .args:
      - .address_space:  global
        .offset:         0
        .size:           8
        .value_kind:     global_buffer
      - .address_space:  global
        .offset:         8
        .size:           8
        .value_kind:     global_buffer
      - .address_space:  global
        .offset:         16
        .size:           8
        .value_kind:     global_buffer
    .group_segment_fixed_size: 6144
    .kernarg_segment_align: 8
    .kernarg_segment_size: 24
    .language:       OpenCL C
    .language_version:
      - 2
      - 0
    .max_flat_workgroup_size: 256
    .name:           _Z6kernelI18scatter_to_stripedN15benchmark_utils11custom_typeIffEELj256ELj3ELj100EEvPKT0_PKjPS4_
    .private_segment_fixed_size: 0
    .sgpr_count:     18
    .sgpr_spill_count: 0
    .symbol:         _Z6kernelI18scatter_to_stripedN15benchmark_utils11custom_typeIffEELj256ELj3ELj100EEvPKT0_PKjPS4_.kd
    .uniform_work_group_size: 1
    .uses_dynamic_stack: false
    .vgpr_count:     11
    .vgpr_spill_count: 0
    .wavefront_size: 32
    .workgroup_processor_mode: 1
  - .args:
      - .address_space:  global
        .offset:         0
        .size:           8
        .value_kind:     global_buffer
      - .address_space:  global
        .offset:         8
        .size:           8
        .value_kind:     global_buffer
      - .address_space:  global
        .offset:         16
        .size:           8
        .value_kind:     global_buffer
    .group_segment_fixed_size: 8448
    .kernarg_segment_align: 8
    .kernarg_segment_size: 24
    .language:       OpenCL C
    .language_version:
      - 2
      - 0
    .max_flat_workgroup_size: 256
    .name:           _Z6kernelI18scatter_to_stripedN15benchmark_utils11custom_typeIffEELj256ELj4ELj100EEvPKT0_PKjPS4_
    .private_segment_fixed_size: 0
    .sgpr_count:     18
    .sgpr_spill_count: 0
    .symbol:         _Z6kernelI18scatter_to_stripedN15benchmark_utils11custom_typeIffEELj256ELj4ELj100EEvPKT0_PKjPS4_.kd
    .uniform_work_group_size: 1
    .uses_dynamic_stack: false
    .vgpr_count:     14
    .vgpr_spill_count: 0
    .wavefront_size: 32
    .workgroup_processor_mode: 1
  - .args:
      - .address_space:  global
        .offset:         0
        .size:           8
        .value_kind:     global_buffer
      - .address_space:  global
        .offset:         8
        .size:           8
        .value_kind:     global_buffer
      - .address_space:  global
        .offset:         16
        .size:           8
        .value_kind:     global_buffer
    .group_segment_fixed_size: 14336
    .kernarg_segment_align: 8
    .kernarg_segment_size: 24
    .language:       OpenCL C
    .language_version:
      - 2
      - 0
    .max_flat_workgroup_size: 256
    .name:           _Z6kernelI18scatter_to_stripedN15benchmark_utils11custom_typeIffEELj256ELj7ELj100EEvPKT0_PKjPS4_
    .private_segment_fixed_size: 0
    .sgpr_count:     18
    .sgpr_spill_count: 0
    .symbol:         _Z6kernelI18scatter_to_stripedN15benchmark_utils11custom_typeIffEELj256ELj7ELj100EEvPKT0_PKjPS4_.kd
    .uniform_work_group_size: 1
    .uses_dynamic_stack: false
    .vgpr_count:     24
    .vgpr_spill_count: 0
    .wavefront_size: 32
    .workgroup_processor_mode: 1
  - .args:
      - .address_space:  global
        .offset:         0
        .size:           8
        .value_kind:     global_buffer
      - .address_space:  global
        .offset:         8
        .size:           8
        .value_kind:     global_buffer
      - .address_space:  global
        .offset:         16
        .size:           8
        .value_kind:     global_buffer
    .group_segment_fixed_size: 16896
    .kernarg_segment_align: 8
    .kernarg_segment_size: 24
    .language:       OpenCL C
    .language_version:
      - 2
      - 0
    .max_flat_workgroup_size: 256
    .name:           _Z6kernelI18scatter_to_stripedN15benchmark_utils11custom_typeIffEELj256ELj8ELj100EEvPKT0_PKjPS4_
    .private_segment_fixed_size: 0
    .sgpr_count:     18
    .sgpr_spill_count: 0
    .symbol:         _Z6kernelI18scatter_to_stripedN15benchmark_utils11custom_typeIffEELj256ELj8ELj100EEvPKT0_PKjPS4_.kd
    .uniform_work_group_size: 1
    .uses_dynamic_stack: false
    .vgpr_count:     28
    .vgpr_spill_count: 0
    .wavefront_size: 32
    .workgroup_processor_mode: 1
  - .args:
      - .address_space:  global
        .offset:         0
        .size:           8
        .value_kind:     global_buffer
      - .address_space:  global
        .offset:         8
        .size:           8
        .value_kind:     global_buffer
      - .address_space:  global
        .offset:         16
        .size:           8
        .value_kind:     global_buffer
    .group_segment_fixed_size: 4096
    .kernarg_segment_align: 8
    .kernarg_segment_size: 24
    .language:       OpenCL C
    .language_version:
      - 2
      - 0
    .max_flat_workgroup_size: 256
    .name:           _Z6kernelI18scatter_to_stripedN15benchmark_utils11custom_typeIddEELj256ELj1ELj100EEvPKT0_PKjPS4_
    .private_segment_fixed_size: 0
    .sgpr_count:     16
    .sgpr_spill_count: 0
    .symbol:         _Z6kernelI18scatter_to_stripedN15benchmark_utils11custom_typeIddEELj256ELj1ELj100EEvPKT0_PKjPS4_.kd
    .uniform_work_group_size: 1
    .uses_dynamic_stack: false
    .vgpr_count:     7
    .vgpr_spill_count: 0
    .wavefront_size: 32
    .workgroup_processor_mode: 1
  - .args:
      - .address_space:  global
        .offset:         0
        .size:           8
        .value_kind:     global_buffer
      - .address_space:  global
        .offset:         8
        .size:           8
        .value_kind:     global_buffer
      - .address_space:  global
        .offset:         16
        .size:           8
        .value_kind:     global_buffer
    .group_segment_fixed_size: 8448
    .kernarg_segment_align: 8
    .kernarg_segment_size: 24
    .language:       OpenCL C
    .language_version:
      - 2
      - 0
    .max_flat_workgroup_size: 256
    .name:           _Z6kernelI18scatter_to_stripedN15benchmark_utils11custom_typeIddEELj256ELj2ELj100EEvPKT0_PKjPS4_
    .private_segment_fixed_size: 0
    .sgpr_count:     18
    .sgpr_spill_count: 0
    .symbol:         _Z6kernelI18scatter_to_stripedN15benchmark_utils11custom_typeIddEELj256ELj2ELj100EEvPKT0_PKjPS4_.kd
    .uniform_work_group_size: 1
    .uses_dynamic_stack: false
    .vgpr_count:     12
    .vgpr_spill_count: 0
    .wavefront_size: 32
    .workgroup_processor_mode: 1
  - .args:
      - .address_space:  global
        .offset:         0
        .size:           8
        .value_kind:     global_buffer
      - .address_space:  global
        .offset:         8
        .size:           8
        .value_kind:     global_buffer
      - .address_space:  global
        .offset:         16
        .size:           8
        .value_kind:     global_buffer
    .group_segment_fixed_size: 12288
    .kernarg_segment_align: 8
    .kernarg_segment_size: 24
    .language:       OpenCL C
    .language_version:
      - 2
      - 0
    .max_flat_workgroup_size: 256
    .name:           _Z6kernelI18scatter_to_stripedN15benchmark_utils11custom_typeIddEELj256ELj3ELj100EEvPKT0_PKjPS4_
    .private_segment_fixed_size: 0
    .sgpr_count:     18
    .sgpr_spill_count: 0
    .symbol:         _Z6kernelI18scatter_to_stripedN15benchmark_utils11custom_typeIddEELj256ELj3ELj100EEvPKT0_PKjPS4_.kd
    .uniform_work_group_size: 1
    .uses_dynamic_stack: false
    .vgpr_count:     17
    .vgpr_spill_count: 0
    .wavefront_size: 32
    .workgroup_processor_mode: 1
  - .args:
      - .address_space:  global
        .offset:         0
        .size:           8
        .value_kind:     global_buffer
      - .address_space:  global
        .offset:         8
        .size:           8
        .value_kind:     global_buffer
      - .address_space:  global
        .offset:         16
        .size:           8
        .value_kind:     global_buffer
    .group_segment_fixed_size: 16896
    .kernarg_segment_align: 8
    .kernarg_segment_size: 24
    .language:       OpenCL C
    .language_version:
      - 2
      - 0
    .max_flat_workgroup_size: 256
    .name:           _Z6kernelI18scatter_to_stripedN15benchmark_utils11custom_typeIddEELj256ELj4ELj100EEvPKT0_PKjPS4_
    .private_segment_fixed_size: 0
    .sgpr_count:     18
    .sgpr_spill_count: 0
    .symbol:         _Z6kernelI18scatter_to_stripedN15benchmark_utils11custom_typeIddEELj256ELj4ELj100EEvPKT0_PKjPS4_.kd
    .uniform_work_group_size: 1
    .uses_dynamic_stack: false
    .vgpr_count:     22
    .vgpr_spill_count: 0
    .wavefront_size: 32
    .workgroup_processor_mode: 1
  - .args:
      - .address_space:  global
        .offset:         0
        .size:           8
        .value_kind:     global_buffer
      - .address_space:  global
        .offset:         8
        .size:           8
        .value_kind:     global_buffer
      - .address_space:  global
        .offset:         16
        .size:           8
        .value_kind:     global_buffer
    .group_segment_fixed_size: 28672
    .kernarg_segment_align: 8
    .kernarg_segment_size: 24
    .language:       OpenCL C
    .language_version:
      - 2
      - 0
    .max_flat_workgroup_size: 256
    .name:           _Z6kernelI18scatter_to_stripedN15benchmark_utils11custom_typeIddEELj256ELj7ELj100EEvPKT0_PKjPS4_
    .private_segment_fixed_size: 0
    .sgpr_count:     18
    .sgpr_spill_count: 0
    .symbol:         _Z6kernelI18scatter_to_stripedN15benchmark_utils11custom_typeIddEELj256ELj7ELj100EEvPKT0_PKjPS4_.kd
    .uniform_work_group_size: 1
    .uses_dynamic_stack: false
    .vgpr_count:     37
    .vgpr_spill_count: 0
    .wavefront_size: 32
    .workgroup_processor_mode: 1
  - .args:
      - .address_space:  global
        .offset:         0
        .size:           8
        .value_kind:     global_buffer
      - .address_space:  global
        .offset:         8
        .size:           8
        .value_kind:     global_buffer
      - .address_space:  global
        .offset:         16
        .size:           8
        .value_kind:     global_buffer
    .group_segment_fixed_size: 33792
    .kernarg_segment_align: 8
    .kernarg_segment_size: 24
    .language:       OpenCL C
    .language_version:
      - 2
      - 0
    .max_flat_workgroup_size: 256
    .name:           _Z6kernelI18scatter_to_stripedN15benchmark_utils11custom_typeIddEELj256ELj8ELj100EEvPKT0_PKjPS4_
    .private_segment_fixed_size: 0
    .sgpr_count:     18
    .sgpr_spill_count: 0
    .symbol:         _Z6kernelI18scatter_to_stripedN15benchmark_utils11custom_typeIddEELj256ELj8ELj100EEvPKT0_PKjPS4_.kd
    .uniform_work_group_size: 1
    .uses_dynamic_stack: false
    .vgpr_count:     42
    .vgpr_spill_count: 0
    .wavefront_size: 32
    .workgroup_processor_mode: 1
amdhsa.target:   amdgcn-amd-amdhsa--gfx1100
amdhsa.version:
  - 1
  - 2
...

	.end_amdgpu_metadata
